;; amdgpu-corpus repo=ROCm/composable_kernel kind=compiled arch=gfx906 opt=O3
	.amdgcn_target "amdgcn-amd-amdhsa--gfx906"
	.amdhsa_code_object_version 6
	.section	.text._ZN2ckL12flush_icacheEv,"axG",@progbits,_ZN2ckL12flush_icacheEv,comdat
	.globl	_ZN2ckL12flush_icacheEv         ; -- Begin function _ZN2ckL12flush_icacheEv
	.p2align	8
	.type	_ZN2ckL12flush_icacheEv,@function
_ZN2ckL12flush_icacheEv:                ; @_ZN2ckL12flush_icacheEv
; %bb.0:
	;;#ASMSTART
	s_icache_inv 
	s_nop 0 
	s_nop 0 
	;; [unrolled: 1-line block ×16, first 2 shown]
	
	;;#ASMEND
	s_endpgm
	.section	.rodata,"a",@progbits
	.p2align	6, 0x0
	.amdhsa_kernel _ZN2ckL12flush_icacheEv
		.amdhsa_group_segment_fixed_size 0
		.amdhsa_private_segment_fixed_size 0
		.amdhsa_kernarg_size 0
		.amdhsa_user_sgpr_count 4
		.amdhsa_user_sgpr_private_segment_buffer 1
		.amdhsa_user_sgpr_dispatch_ptr 0
		.amdhsa_user_sgpr_queue_ptr 0
		.amdhsa_user_sgpr_kernarg_segment_ptr 0
		.amdhsa_user_sgpr_dispatch_id 0
		.amdhsa_user_sgpr_flat_scratch_init 0
		.amdhsa_user_sgpr_private_segment_size 0
		.amdhsa_uses_dynamic_stack 0
		.amdhsa_system_sgpr_private_segment_wavefront_offset 0
		.amdhsa_system_sgpr_workgroup_id_x 1
		.amdhsa_system_sgpr_workgroup_id_y 0
		.amdhsa_system_sgpr_workgroup_id_z 0
		.amdhsa_system_sgpr_workgroup_info 0
		.amdhsa_system_vgpr_workitem_id 0
		.amdhsa_next_free_vgpr 1
		.amdhsa_next_free_sgpr 0
		.amdhsa_reserve_vcc 0
		.amdhsa_reserve_flat_scratch 0
		.amdhsa_float_round_mode_32 0
		.amdhsa_float_round_mode_16_64 0
		.amdhsa_float_denorm_mode_32 3
		.amdhsa_float_denorm_mode_16_64 3
		.amdhsa_dx10_clamp 1
		.amdhsa_ieee_mode 1
		.amdhsa_fp16_overflow 0
		.amdhsa_exception_fp_ieee_invalid_op 0
		.amdhsa_exception_fp_denorm_src 0
		.amdhsa_exception_fp_ieee_div_zero 0
		.amdhsa_exception_fp_ieee_overflow 0
		.amdhsa_exception_fp_ieee_underflow 0
		.amdhsa_exception_fp_ieee_inexact 0
		.amdhsa_exception_int_div_zero 0
	.end_amdhsa_kernel
	.section	.text._ZN2ckL12flush_icacheEv,"axG",@progbits,_ZN2ckL12flush_icacheEv,comdat
.Lfunc_end0:
	.size	_ZN2ckL12flush_icacheEv, .Lfunc_end0-_ZN2ckL12flush_icacheEv
                                        ; -- End function
	.set _ZN2ckL12flush_icacheEv.num_vgpr, 0
	.set _ZN2ckL12flush_icacheEv.num_agpr, 0
	.set _ZN2ckL12flush_icacheEv.numbered_sgpr, 0
	.set _ZN2ckL12flush_icacheEv.num_named_barrier, 0
	.set _ZN2ckL12flush_icacheEv.private_seg_size, 0
	.set _ZN2ckL12flush_icacheEv.uses_vcc, 0
	.set _ZN2ckL12flush_icacheEv.uses_flat_scratch, 0
	.set _ZN2ckL12flush_icacheEv.has_dyn_sized_stack, 0
	.set _ZN2ckL12flush_icacheEv.has_recursion, 0
	.set _ZN2ckL12flush_icacheEv.has_indirect_call, 0
	.section	.AMDGPU.csdata,"",@progbits
; Kernel info:
; codeLenInByte = 140
; TotalNumSgprs: 4
; NumVgprs: 0
; ScratchSize: 0
; MemoryBound: 0
; FloatMode: 240
; IeeeMode: 1
; LDSByteSize: 0 bytes/workgroup (compile time only)
; SGPRBlocks: 0
; VGPRBlocks: 0
; NumSGPRsForWavesPerEU: 4
; NumVGPRsForWavesPerEU: 1
; Occupancy: 10
; WaveLimiterHint : 0
; COMPUTE_PGM_RSRC2:SCRATCH_EN: 0
; COMPUTE_PGM_RSRC2:USER_SGPR: 4
; COMPUTE_PGM_RSRC2:TRAP_HANDLER: 0
; COMPUTE_PGM_RSRC2:TGID_X_EN: 1
; COMPUTE_PGM_RSRC2:TGID_Y_EN: 0
; COMPUTE_PGM_RSRC2:TGID_Z_EN: 0
; COMPUTE_PGM_RSRC2:TIDIG_COMP_CNT: 0
	.section	.text._ZN2ck19kernel_gemm_dl_v1r3INS_28GridwiseGemmDl_km_kn_mn_v1r3ILi256EDF16_fDF16_LNS_25InMemoryDataOperationEnumE0ENS_16TensorDescriptorINS_5TupleIJNS_5EmbedINS4_IJiiEEENS4_IJNS_17integral_constantIiLi1EEEiEEELb0EEENS_7UnMergeINS4_IJiNS7_IiLi2EEEEEELb0EEENS_11PassThroughIiEEEEENS4_IJNS_8SequenceIJLi0EEEENSI_IJLi2EEEENSI_IJLi1EEEEEEENS4_IJNSI_IJLi1ELi2EEEENSI_IJLi3ELi4EEEENSI_IJLi5EEEEEEENSI_IJLi3ELi5ELi4EEEElEENS3_INS4_IJNS5_IS6_NS4_IJiS8_EEELb0EEESE_SG_EEENS4_IJSJ_SL_SK_EEESQ_SR_lEENS3_INS4_IJSU_SG_SG_EEESW_NS4_IJSN_NSI_IJLi3EEEENSI_IJLi4EEEEEEESO_lEELi128ELi128ELi16ELi2ELi4ELi4ELi1ENSI_IJLi8ELi2EEEES13_NSI_IJLi2ELi1ELi4ELi2EEEENSI_IJLi8ELi1ELi32ELi1EEEENSI_IJLi0ELi3ELi1ELi2EEEES16_NSI_IJLi1ELi1ELi4ELi1EEEES16_NSI_IJLi1ELi1ELi4ELi2EEEES14_S15_S16_S16_S17_S16_S18_NSI_IJLi0ELi1ELi2ELi3ELi4ELi5EEEELi5ELi4EEEDF16_DF16_NS3_INS4_IJSA_SE_SG_SG_NSB_INS4_IJiNS7_IiLi128EEEEEELb0EEENSF_ISC_EEEEENS4_IJSJ_SK_SL_SZ_SP_S10_EEENS4_IJSN_SO_SP_NSI_IJLi6EEEENSI_IJLi7ELi8EEEENSI_IJLi9EEEEEEENSI_IJLi6ELi7ELi8ELi9EEEElEENS3_INS4_IJSU_SE_SG_SG_S1D_S1E_EEENS4_IJSJ_SL_SK_SZ_SP_S10_EEES1K_S1L_lEENS3_INS4_IJSU_SG_SG_NSB_INS4_IJiSC_NS7_IiLi64EEEEEELb0EEES1S_EEENS4_IJSJ_SL_SK_SZ_S10_EEENS4_IJSN_SZ_S10_NSI_IJLi5ELi6ELi7EEEENSI_IJLi8ELi9ELi10EEEEEEENSI_IJLi5ELi6ELi7ELi8ELi9ELi10EEEElEENS_31BlockToCTileMap_M00_N00_M01_N01ILi128ELi128ES12_Lb0EEELb1ELb1EEEvPKT0_S24_PT1_T2_T3_T4_T5_,"axG",@progbits,_ZN2ck19kernel_gemm_dl_v1r3INS_28GridwiseGemmDl_km_kn_mn_v1r3ILi256EDF16_fDF16_LNS_25InMemoryDataOperationEnumE0ENS_16TensorDescriptorINS_5TupleIJNS_5EmbedINS4_IJiiEEENS4_IJNS_17integral_constantIiLi1EEEiEEELb0EEENS_7UnMergeINS4_IJiNS7_IiLi2EEEEEELb0EEENS_11PassThroughIiEEEEENS4_IJNS_8SequenceIJLi0EEEENSI_IJLi2EEEENSI_IJLi1EEEEEEENS4_IJNSI_IJLi1ELi2EEEENSI_IJLi3ELi4EEEENSI_IJLi5EEEEEEENSI_IJLi3ELi5ELi4EEEElEENS3_INS4_IJNS5_IS6_NS4_IJiS8_EEELb0EEESE_SG_EEENS4_IJSJ_SL_SK_EEESQ_SR_lEENS3_INS4_IJSU_SG_SG_EEESW_NS4_IJSN_NSI_IJLi3EEEENSI_IJLi4EEEEEEESO_lEELi128ELi128ELi16ELi2ELi4ELi4ELi1ENSI_IJLi8ELi2EEEES13_NSI_IJLi2ELi1ELi4ELi2EEEENSI_IJLi8ELi1ELi32ELi1EEEENSI_IJLi0ELi3ELi1ELi2EEEES16_NSI_IJLi1ELi1ELi4ELi1EEEES16_NSI_IJLi1ELi1ELi4ELi2EEEES14_S15_S16_S16_S17_S16_S18_NSI_IJLi0ELi1ELi2ELi3ELi4ELi5EEEELi5ELi4EEEDF16_DF16_NS3_INS4_IJSA_SE_SG_SG_NSB_INS4_IJiNS7_IiLi128EEEEEELb0EEENSF_ISC_EEEEENS4_IJSJ_SK_SL_SZ_SP_S10_EEENS4_IJSN_SO_SP_NSI_IJLi6EEEENSI_IJLi7ELi8EEEENSI_IJLi9EEEEEEENSI_IJLi6ELi7ELi8ELi9EEEElEENS3_INS4_IJSU_SE_SG_SG_S1D_S1E_EEENS4_IJSJ_SL_SK_SZ_SP_S10_EEES1K_S1L_lEENS3_INS4_IJSU_SG_SG_NSB_INS4_IJiSC_NS7_IiLi64EEEEEELb0EEES1S_EEENS4_IJSJ_SL_SK_SZ_S10_EEENS4_IJSN_SZ_S10_NSI_IJLi5ELi6ELi7EEEENSI_IJLi8ELi9ELi10EEEEEEENSI_IJLi5ELi6ELi7ELi8ELi9ELi10EEEElEENS_31BlockToCTileMap_M00_N00_M01_N01ILi128ELi128ES12_Lb0EEELb1ELb1EEEvPKT0_S24_PT1_T2_T3_T4_T5_,comdat
	.protected	_ZN2ck19kernel_gemm_dl_v1r3INS_28GridwiseGemmDl_km_kn_mn_v1r3ILi256EDF16_fDF16_LNS_25InMemoryDataOperationEnumE0ENS_16TensorDescriptorINS_5TupleIJNS_5EmbedINS4_IJiiEEENS4_IJNS_17integral_constantIiLi1EEEiEEELb0EEENS_7UnMergeINS4_IJiNS7_IiLi2EEEEEELb0EEENS_11PassThroughIiEEEEENS4_IJNS_8SequenceIJLi0EEEENSI_IJLi2EEEENSI_IJLi1EEEEEEENS4_IJNSI_IJLi1ELi2EEEENSI_IJLi3ELi4EEEENSI_IJLi5EEEEEEENSI_IJLi3ELi5ELi4EEEElEENS3_INS4_IJNS5_IS6_NS4_IJiS8_EEELb0EEESE_SG_EEENS4_IJSJ_SL_SK_EEESQ_SR_lEENS3_INS4_IJSU_SG_SG_EEESW_NS4_IJSN_NSI_IJLi3EEEENSI_IJLi4EEEEEEESO_lEELi128ELi128ELi16ELi2ELi4ELi4ELi1ENSI_IJLi8ELi2EEEES13_NSI_IJLi2ELi1ELi4ELi2EEEENSI_IJLi8ELi1ELi32ELi1EEEENSI_IJLi0ELi3ELi1ELi2EEEES16_NSI_IJLi1ELi1ELi4ELi1EEEES16_NSI_IJLi1ELi1ELi4ELi2EEEES14_S15_S16_S16_S17_S16_S18_NSI_IJLi0ELi1ELi2ELi3ELi4ELi5EEEELi5ELi4EEEDF16_DF16_NS3_INS4_IJSA_SE_SG_SG_NSB_INS4_IJiNS7_IiLi128EEEEEELb0EEENSF_ISC_EEEEENS4_IJSJ_SK_SL_SZ_SP_S10_EEENS4_IJSN_SO_SP_NSI_IJLi6EEEENSI_IJLi7ELi8EEEENSI_IJLi9EEEEEEENSI_IJLi6ELi7ELi8ELi9EEEElEENS3_INS4_IJSU_SE_SG_SG_S1D_S1E_EEENS4_IJSJ_SL_SK_SZ_SP_S10_EEES1K_S1L_lEENS3_INS4_IJSU_SG_SG_NSB_INS4_IJiSC_NS7_IiLi64EEEEEELb0EEES1S_EEENS4_IJSJ_SL_SK_SZ_S10_EEENS4_IJSN_SZ_S10_NSI_IJLi5ELi6ELi7EEEENSI_IJLi8ELi9ELi10EEEEEEENSI_IJLi5ELi6ELi7ELi8ELi9ELi10EEEElEENS_31BlockToCTileMap_M00_N00_M01_N01ILi128ELi128ES12_Lb0EEELb1ELb1EEEvPKT0_S24_PT1_T2_T3_T4_T5_ ; -- Begin function _ZN2ck19kernel_gemm_dl_v1r3INS_28GridwiseGemmDl_km_kn_mn_v1r3ILi256EDF16_fDF16_LNS_25InMemoryDataOperationEnumE0ENS_16TensorDescriptorINS_5TupleIJNS_5EmbedINS4_IJiiEEENS4_IJNS_17integral_constantIiLi1EEEiEEELb0EEENS_7UnMergeINS4_IJiNS7_IiLi2EEEEEELb0EEENS_11PassThroughIiEEEEENS4_IJNS_8SequenceIJLi0EEEENSI_IJLi2EEEENSI_IJLi1EEEEEEENS4_IJNSI_IJLi1ELi2EEEENSI_IJLi3ELi4EEEENSI_IJLi5EEEEEEENSI_IJLi3ELi5ELi4EEEElEENS3_INS4_IJNS5_IS6_NS4_IJiS8_EEELb0EEESE_SG_EEENS4_IJSJ_SL_SK_EEESQ_SR_lEENS3_INS4_IJSU_SG_SG_EEESW_NS4_IJSN_NSI_IJLi3EEEENSI_IJLi4EEEEEEESO_lEELi128ELi128ELi16ELi2ELi4ELi4ELi1ENSI_IJLi8ELi2EEEES13_NSI_IJLi2ELi1ELi4ELi2EEEENSI_IJLi8ELi1ELi32ELi1EEEENSI_IJLi0ELi3ELi1ELi2EEEES16_NSI_IJLi1ELi1ELi4ELi1EEEES16_NSI_IJLi1ELi1ELi4ELi2EEEES14_S15_S16_S16_S17_S16_S18_NSI_IJLi0ELi1ELi2ELi3ELi4ELi5EEEELi5ELi4EEEDF16_DF16_NS3_INS4_IJSA_SE_SG_SG_NSB_INS4_IJiNS7_IiLi128EEEEEELb0EEENSF_ISC_EEEEENS4_IJSJ_SK_SL_SZ_SP_S10_EEENS4_IJSN_SO_SP_NSI_IJLi6EEEENSI_IJLi7ELi8EEEENSI_IJLi9EEEEEEENSI_IJLi6ELi7ELi8ELi9EEEElEENS3_INS4_IJSU_SE_SG_SG_S1D_S1E_EEENS4_IJSJ_SL_SK_SZ_SP_S10_EEES1K_S1L_lEENS3_INS4_IJSU_SG_SG_NSB_INS4_IJiSC_NS7_IiLi64EEEEEELb0EEES1S_EEENS4_IJSJ_SL_SK_SZ_S10_EEENS4_IJSN_SZ_S10_NSI_IJLi5ELi6ELi7EEEENSI_IJLi8ELi9ELi10EEEEEEENSI_IJLi5ELi6ELi7ELi8ELi9ELi10EEEElEENS_31BlockToCTileMap_M00_N00_M01_N01ILi128ELi128ES12_Lb0EEELb1ELb1EEEvPKT0_S24_PT1_T2_T3_T4_T5_
	.globl	_ZN2ck19kernel_gemm_dl_v1r3INS_28GridwiseGemmDl_km_kn_mn_v1r3ILi256EDF16_fDF16_LNS_25InMemoryDataOperationEnumE0ENS_16TensorDescriptorINS_5TupleIJNS_5EmbedINS4_IJiiEEENS4_IJNS_17integral_constantIiLi1EEEiEEELb0EEENS_7UnMergeINS4_IJiNS7_IiLi2EEEEEELb0EEENS_11PassThroughIiEEEEENS4_IJNS_8SequenceIJLi0EEEENSI_IJLi2EEEENSI_IJLi1EEEEEEENS4_IJNSI_IJLi1ELi2EEEENSI_IJLi3ELi4EEEENSI_IJLi5EEEEEEENSI_IJLi3ELi5ELi4EEEElEENS3_INS4_IJNS5_IS6_NS4_IJiS8_EEELb0EEESE_SG_EEENS4_IJSJ_SL_SK_EEESQ_SR_lEENS3_INS4_IJSU_SG_SG_EEESW_NS4_IJSN_NSI_IJLi3EEEENSI_IJLi4EEEEEEESO_lEELi128ELi128ELi16ELi2ELi4ELi4ELi1ENSI_IJLi8ELi2EEEES13_NSI_IJLi2ELi1ELi4ELi2EEEENSI_IJLi8ELi1ELi32ELi1EEEENSI_IJLi0ELi3ELi1ELi2EEEES16_NSI_IJLi1ELi1ELi4ELi1EEEES16_NSI_IJLi1ELi1ELi4ELi2EEEES14_S15_S16_S16_S17_S16_S18_NSI_IJLi0ELi1ELi2ELi3ELi4ELi5EEEELi5ELi4EEEDF16_DF16_NS3_INS4_IJSA_SE_SG_SG_NSB_INS4_IJiNS7_IiLi128EEEEEELb0EEENSF_ISC_EEEEENS4_IJSJ_SK_SL_SZ_SP_S10_EEENS4_IJSN_SO_SP_NSI_IJLi6EEEENSI_IJLi7ELi8EEEENSI_IJLi9EEEEEEENSI_IJLi6ELi7ELi8ELi9EEEElEENS3_INS4_IJSU_SE_SG_SG_S1D_S1E_EEENS4_IJSJ_SL_SK_SZ_SP_S10_EEES1K_S1L_lEENS3_INS4_IJSU_SG_SG_NSB_INS4_IJiSC_NS7_IiLi64EEEEEELb0EEES1S_EEENS4_IJSJ_SL_SK_SZ_S10_EEENS4_IJSN_SZ_S10_NSI_IJLi5ELi6ELi7EEEENSI_IJLi8ELi9ELi10EEEEEEENSI_IJLi5ELi6ELi7ELi8ELi9ELi10EEEElEENS_31BlockToCTileMap_M00_N00_M01_N01ILi128ELi128ES12_Lb0EEELb1ELb1EEEvPKT0_S24_PT1_T2_T3_T4_T5_
	.p2align	8
	.type	_ZN2ck19kernel_gemm_dl_v1r3INS_28GridwiseGemmDl_km_kn_mn_v1r3ILi256EDF16_fDF16_LNS_25InMemoryDataOperationEnumE0ENS_16TensorDescriptorINS_5TupleIJNS_5EmbedINS4_IJiiEEENS4_IJNS_17integral_constantIiLi1EEEiEEELb0EEENS_7UnMergeINS4_IJiNS7_IiLi2EEEEEELb0EEENS_11PassThroughIiEEEEENS4_IJNS_8SequenceIJLi0EEEENSI_IJLi2EEEENSI_IJLi1EEEEEEENS4_IJNSI_IJLi1ELi2EEEENSI_IJLi3ELi4EEEENSI_IJLi5EEEEEEENSI_IJLi3ELi5ELi4EEEElEENS3_INS4_IJNS5_IS6_NS4_IJiS8_EEELb0EEESE_SG_EEENS4_IJSJ_SL_SK_EEESQ_SR_lEENS3_INS4_IJSU_SG_SG_EEESW_NS4_IJSN_NSI_IJLi3EEEENSI_IJLi4EEEEEEESO_lEELi128ELi128ELi16ELi2ELi4ELi4ELi1ENSI_IJLi8ELi2EEEES13_NSI_IJLi2ELi1ELi4ELi2EEEENSI_IJLi8ELi1ELi32ELi1EEEENSI_IJLi0ELi3ELi1ELi2EEEES16_NSI_IJLi1ELi1ELi4ELi1EEEES16_NSI_IJLi1ELi1ELi4ELi2EEEES14_S15_S16_S16_S17_S16_S18_NSI_IJLi0ELi1ELi2ELi3ELi4ELi5EEEELi5ELi4EEEDF16_DF16_NS3_INS4_IJSA_SE_SG_SG_NSB_INS4_IJiNS7_IiLi128EEEEEELb0EEENSF_ISC_EEEEENS4_IJSJ_SK_SL_SZ_SP_S10_EEENS4_IJSN_SO_SP_NSI_IJLi6EEEENSI_IJLi7ELi8EEEENSI_IJLi9EEEEEEENSI_IJLi6ELi7ELi8ELi9EEEElEENS3_INS4_IJSU_SE_SG_SG_S1D_S1E_EEENS4_IJSJ_SL_SK_SZ_SP_S10_EEES1K_S1L_lEENS3_INS4_IJSU_SG_SG_NSB_INS4_IJiSC_NS7_IiLi64EEEEEELb0EEES1S_EEENS4_IJSJ_SL_SK_SZ_S10_EEENS4_IJSN_SZ_S10_NSI_IJLi5ELi6ELi7EEEENSI_IJLi8ELi9ELi10EEEEEEENSI_IJLi5ELi6ELi7ELi8ELi9ELi10EEEElEENS_31BlockToCTileMap_M00_N00_M01_N01ILi128ELi128ES12_Lb0EEELb1ELb1EEEvPKT0_S24_PT1_T2_T3_T4_T5_,@function
_ZN2ck19kernel_gemm_dl_v1r3INS_28GridwiseGemmDl_km_kn_mn_v1r3ILi256EDF16_fDF16_LNS_25InMemoryDataOperationEnumE0ENS_16TensorDescriptorINS_5TupleIJNS_5EmbedINS4_IJiiEEENS4_IJNS_17integral_constantIiLi1EEEiEEELb0EEENS_7UnMergeINS4_IJiNS7_IiLi2EEEEEELb0EEENS_11PassThroughIiEEEEENS4_IJNS_8SequenceIJLi0EEEENSI_IJLi2EEEENSI_IJLi1EEEEEEENS4_IJNSI_IJLi1ELi2EEEENSI_IJLi3ELi4EEEENSI_IJLi5EEEEEEENSI_IJLi3ELi5ELi4EEEElEENS3_INS4_IJNS5_IS6_NS4_IJiS8_EEELb0EEESE_SG_EEENS4_IJSJ_SL_SK_EEESQ_SR_lEENS3_INS4_IJSU_SG_SG_EEESW_NS4_IJSN_NSI_IJLi3EEEENSI_IJLi4EEEEEEESO_lEELi128ELi128ELi16ELi2ELi4ELi4ELi1ENSI_IJLi8ELi2EEEES13_NSI_IJLi2ELi1ELi4ELi2EEEENSI_IJLi8ELi1ELi32ELi1EEEENSI_IJLi0ELi3ELi1ELi2EEEES16_NSI_IJLi1ELi1ELi4ELi1EEEES16_NSI_IJLi1ELi1ELi4ELi2EEEES14_S15_S16_S16_S17_S16_S18_NSI_IJLi0ELi1ELi2ELi3ELi4ELi5EEEELi5ELi4EEEDF16_DF16_NS3_INS4_IJSA_SE_SG_SG_NSB_INS4_IJiNS7_IiLi128EEEEEELb0EEENSF_ISC_EEEEENS4_IJSJ_SK_SL_SZ_SP_S10_EEENS4_IJSN_SO_SP_NSI_IJLi6EEEENSI_IJLi7ELi8EEEENSI_IJLi9EEEEEEENSI_IJLi6ELi7ELi8ELi9EEEElEENS3_INS4_IJSU_SE_SG_SG_S1D_S1E_EEENS4_IJSJ_SL_SK_SZ_SP_S10_EEES1K_S1L_lEENS3_INS4_IJSU_SG_SG_NSB_INS4_IJiSC_NS7_IiLi64EEEEEELb0EEES1S_EEENS4_IJSJ_SL_SK_SZ_S10_EEENS4_IJSN_SZ_S10_NSI_IJLi5ELi6ELi7EEEENSI_IJLi8ELi9ELi10EEEEEEENSI_IJLi5ELi6ELi7ELi8ELi9ELi10EEEElEENS_31BlockToCTileMap_M00_N00_M01_N01ILi128ELi128ES12_Lb0EEELb1ELb1EEEvPKT0_S24_PT1_T2_T3_T4_T5_: ; @_ZN2ck19kernel_gemm_dl_v1r3INS_28GridwiseGemmDl_km_kn_mn_v1r3ILi256EDF16_fDF16_LNS_25InMemoryDataOperationEnumE0ENS_16TensorDescriptorINS_5TupleIJNS_5EmbedINS4_IJiiEEENS4_IJNS_17integral_constantIiLi1EEEiEEELb0EEENS_7UnMergeINS4_IJiNS7_IiLi2EEEEEELb0EEENS_11PassThroughIiEEEEENS4_IJNS_8SequenceIJLi0EEEENSI_IJLi2EEEENSI_IJLi1EEEEEEENS4_IJNSI_IJLi1ELi2EEEENSI_IJLi3ELi4EEEENSI_IJLi5EEEEEEENSI_IJLi3ELi5ELi4EEEElEENS3_INS4_IJNS5_IS6_NS4_IJiS8_EEELb0EEESE_SG_EEENS4_IJSJ_SL_SK_EEESQ_SR_lEENS3_INS4_IJSU_SG_SG_EEESW_NS4_IJSN_NSI_IJLi3EEEENSI_IJLi4EEEEEEESO_lEELi128ELi128ELi16ELi2ELi4ELi4ELi1ENSI_IJLi8ELi2EEEES13_NSI_IJLi2ELi1ELi4ELi2EEEENSI_IJLi8ELi1ELi32ELi1EEEENSI_IJLi0ELi3ELi1ELi2EEEES16_NSI_IJLi1ELi1ELi4ELi1EEEES16_NSI_IJLi1ELi1ELi4ELi2EEEES14_S15_S16_S16_S17_S16_S18_NSI_IJLi0ELi1ELi2ELi3ELi4ELi5EEEELi5ELi4EEEDF16_DF16_NS3_INS4_IJSA_SE_SG_SG_NSB_INS4_IJiNS7_IiLi128EEEEEELb0EEENSF_ISC_EEEEENS4_IJSJ_SK_SL_SZ_SP_S10_EEENS4_IJSN_SO_SP_NSI_IJLi6EEEENSI_IJLi7ELi8EEEENSI_IJLi9EEEEEEENSI_IJLi6ELi7ELi8ELi9EEEElEENS3_INS4_IJSU_SE_SG_SG_S1D_S1E_EEENS4_IJSJ_SL_SK_SZ_SP_S10_EEES1K_S1L_lEENS3_INS4_IJSU_SG_SG_NSB_INS4_IJiSC_NS7_IiLi64EEEEEELb0EEES1S_EEENS4_IJSJ_SL_SK_SZ_S10_EEENS4_IJSN_SZ_S10_NSI_IJLi5ELi6ELi7EEEENSI_IJLi8ELi9ELi10EEEEEEENSI_IJLi5ELi6ELi7ELi8ELi9ELi10EEEElEENS_31BlockToCTileMap_M00_N00_M01_N01ILi128ELi128ES12_Lb0EEELb1ELb1EEEvPKT0_S24_PT1_T2_T3_T4_T5_
; %bb.0:
	s_mov_b64 s[46:47], s[2:3]
	s_mov_b64 s[44:45], s[0:1]
	s_add_u32 s44, s44, s7
	s_load_dwordx4 s[8:11], s[4:5], 0x0
	s_load_dwordx2 s[0:1], s[4:5], 0x10
	s_load_dword s7, s[4:5], 0xfc
	s_load_dwordx4 s[12:15], s[4:5], 0x108
	s_load_dwordx4 s[20:23], s[4:5], 0x11c
	;; [unrolled: 1-line block ×3, first 2 shown]
	s_load_dword s19, s[4:5], 0x24
	s_load_dword s28, s[4:5], 0x38
	;; [unrolled: 1-line block ×6, first 2 shown]
	s_load_dwordx2 s[2:3], s[4:5], 0xd0
	s_waitcnt lgkmcnt(0)
	s_load_dword s3, s[4:5], 0xec
                                        ; kill: killed $sgpr4_sgpr5
	s_mul_hi_u32 s4, s23, s6
	s_addc_u32 s45, s45, 0
	s_add_i32 s4, s6, s4
	s_lshr_b32 s4, s4, s27
	s_mul_i32 s5, s4, s15
	s_sub_i32 s5, s6, s5
	s_mul_hi_u32 s6, s4, s22
	s_add_i32 s6, s4, s6
	s_lshr_b32 s6, s6, s26
	s_mul_i32 s14, s6, s14
	s_sub_i32 s4, s4, s14
	s_mul_hi_u32 s14, s6, s21
	;; [unrolled: 5-line block ×3, first 2 shown]
	s_add_i32 s13, s14, s13
	s_lshr_b32 s13, s13, s24
	s_mul_i32 s13, s13, s12
	s_sub_i32 s12, s14, s13
	s_waitcnt lgkmcnt(0)
	s_mul_i32 s12, s12, s3
	s_add_i32 s34, s4, s12
	v_lshrrev_b32_e32 v1, 4, v0
	v_lshlrev_b32_e32 v3, 2, v0
	v_and_b32_e32 v19, 14, v1
	v_and_b32_e32 v24, 0x7c, v3
	s_lshl_b32 s17, s34, 7
	s_mul_i32 s6, s6, s7
	v_or_b32_e32 v1, s17, v24
	v_lshlrev_b32_e32 v2, 1, v19
	s_add_i32 s24, s5, s6
	v_mul_lo_u32 v4, s18, v2
	v_mad_u64_u32 v[1:2], s[4:5], s19, v2, v[1:2]
	s_lshl_b32 s3, s24, 7
	s_lshl_b32 s20, s19, 1
	v_add3_u32 v2, v4, v24, s3
	s_lshl_b32 s14, s29, 1
	s_and_b32 s13, s9, 0xffff
	s_mov_b32 s15, 0x20000
	s_mov_b32 s12, s8
	v_lshlrev_b32_e32 v4, 1, v1
	v_add_u32_e32 v5, s19, v1
	v_add_lshl_u32 v1, s20, v1, 1
	s_mov_b32 s6, s14
	s_mov_b32 s5, s13
	v_lshlrev_b32_e32 v13, 1, v5
	v_add_lshl_u32 v14, v5, s20, 1
	buffer_load_dwordx2 v[5:6], v4, s[12:15], 0 offen
	buffer_load_dwordx2 v[7:8], v13, s[12:15], 0 offen
	;; [unrolled: 1-line block ×4, first 2 shown]
	s_lshl_b32 s14, s30, 1
	s_and_b32 s13, s11, 0xffff
	s_mov_b32 s12, s10
	v_lshlrev_b32_e32 v1, 1, v2
	v_add_u32_e32 v4, s18, v2
	s_lshl_b32 s21, s18, 1
	v_lshlrev_b32_e32 v17, 1, v4
	buffer_load_dwordx2 v[13:14], v1, s[12:15], 0 offen
	buffer_load_dwordx2 v[15:16], v17, s[12:15], 0 offen
	v_add_lshl_u32 v1, v4, s21, 1
	v_add_lshl_u32 v2, s21, v2, 1
	buffer_load_dwordx2 v[17:18], v1, s[12:15], 0 offen
	buffer_load_dwordx2 v[22:23], v2, s[12:15], 0 offen
	v_lshrrev_b32_e32 v27, 5, v0
	v_lshlrev_b32_e32 v1, 1, v0
	v_lshlrev_b32_e32 v2, 6, v27
	v_and_b32_e32 v4, 0x1f8, v1
	s_mov_b32 s22, 0x7060302
	s_mov_b32 s23, 0x5040100
	v_lshlrev_b32_e32 v20, 3, v27
	v_sub_u32_e32 v2, v4, v2
	v_and_or_b32 v21, v1, 4, v20
	v_and_or_b32 v20, v3, 4, v2
	v_and_b32_e32 v0, 31, v0
	s_mov_b32 s7, s15
	s_mov_b32 s11, s15
	;; [unrolled: 1-line block ×6, first 2 shown]
	s_sub_i32 s13, s28, 32
	s_lshl_b32 s33, s24, 8
	s_lshl_b32 s24, s18, 7
	s_mul_i32 s25, s18, 0x86
	s_mul_i32 s26, s18, 0x82
	s_mul_i32 s28, s18, 0x44
	s_mul_i32 s29, s18, 0x46
	s_add_i32 s25, s33, s25
	s_add_i32 s26, s33, s26
	;; [unrolled: 1-line block ×5, first 2 shown]
	s_lshl_b32 s42, s34, 8
	s_mul_i32 s34, s19, 0x84
	s_lshl_b32 s35, s19, 7
	s_mul_i32 s36, s19, 0x86
	s_mul_i32 s37, s19, 0x82
	;; [unrolled: 1-line block ×5, first 2 shown]
	s_mov_b32 s12, 0
	s_add_i32 s34, s42, s34
	s_add_i32 s36, s42, s36
	;; [unrolled: 1-line block ×7, first 2 shown]
	v_mov_b32_e32 v30, 0
	v_mov_b32_e32 v31, 0
	v_mov_b32_e32 v32, 0
	v_mov_b32_e32 v33, 0
	v_mov_b32_e32 v29, 0
	v_mov_b32_e32 v34, 0
	v_mov_b32_e32 v35, 0
	v_mov_b32_e32 v36, 0
	v_mov_b32_e32 v37, 0
	v_mov_b32_e32 v49, 0
	v_mov_b32_e32 v50, 0
	v_mov_b32_e32 v51, 0
	v_mov_b32_e32 v52, 0
	v_mov_b32_e32 v65, 0
	v_mov_b32_e32 v66, 0
	v_mov_b32_e32 v67, 0
	v_mov_b32_e32 v69, 0
	v_mov_b32_e32 v57, 0
	v_mov_b32_e32 v62, 0
	v_mov_b32_e32 v63, 0
	v_mov_b32_e32 v64, 0
	s_waitcnt vmcnt(6)
	v_perm_b32 v4, v8, v6, s22
	v_perm_b32 v2, v7, v5, s22
	;; [unrolled: 1-line block ×4, first 2 shown]
	s_waitcnt vmcnt(4)
	v_perm_b32 v8, v10, v12, s22
	v_perm_b32 v6, v9, v11, s22
	;; [unrolled: 1-line block ×4, first 2 shown]
	v_mov_b32_e32 v73, 0
	v_mov_b32_e32 v74, 0
	s_waitcnt vmcnt(2)
	v_perm_b32 v12, v16, v14, s22
	v_perm_b32 v10, v15, v13, s22
	;; [unrolled: 1-line block ×4, first 2 shown]
	s_waitcnt vmcnt(0)
	v_perm_b32 v14, v17, v22, s22
	v_perm_b32 v13, v17, v22, s23
	v_lshlrev_b32_e32 v17, 2, v24
	v_lshl_or_b32 v17, v19, 9, v17
	ds_write_b128 v17, v[1:4]
	ds_write_b128 v17, v[5:8] offset:512
	ds_write_b128 v17, v[9:12] offset:16384
	v_mad_u64_u32 v[1:2], s[14:15], s18, v27, v[0:1]
	s_lshl_b32 s14, s18, 6
	s_mul_i32 s15, s18, 0x84
	v_lshl_add_u32 v3, v1, 2, s3
	v_lshlrev_b32_e32 v1, 3, v1
	buffer_store_dword v1, off, s[44:47], 0 offset:44 ; 4-byte Folded Spill
	v_mad_u64_u32 v[0:1], s[30:31], s19, v27, v[0:1]
	s_mul_i32 s30, s18, 0x42
	v_perm_b32 v16, v18, v23, s22
	v_perm_b32 v15, v18, v23, s23
	s_add_i32 s15, s33, s15
	s_add_i32 s30, s33, s30
	;; [unrolled: 1-line block ×3, first 2 shown]
	s_lshl_b32 s33, s19, 6
	buffer_store_dword v17, off, s[44:47], 0 ; 4-byte Folded Spill
	ds_write_b128 v17, v[13:16] offset:16896
	v_lshlrev_b32_e32 v22, 2, v21
	v_lshlrev_b32_e32 v23, 2, v20
	v_lshl_add_u32 v1, v0, 2, s17
	v_lshlrev_b32_e32 v0, 3, v0
	s_add_i32 s42, s42, s33
	v_mov_b32_e32 v16, 0
	v_mov_b32_e32 v17, 0
	;; [unrolled: 1-line block ×41, first 2 shown]
	buffer_store_dword v21, off, s[44:47], 0 offset:56 ; 4-byte Folded Spill
	buffer_store_dword v20, off, s[44:47], 0 offset:52 ; 4-byte Folded Spill
	;; [unrolled: 1-line block ×3, first 2 shown]
.LBB1_1:                                ; =>This Inner Loop Header: Depth=1
	buffer_store_dword v1, off, s[44:47], 0 offset:8 ; 4-byte Folded Spill
	buffer_store_dword v3, off, s[44:47], 0 offset:4 ; 4-byte Folded Spill
	buffer_load_dword v25, off, s[44:47], 0 offset:48 ; 4-byte Folded Reload
	buffer_load_dword v24, off, s[44:47], 0 offset:44 ; 4-byte Folded Reload
	s_add_i32 s12, s12, 32
	s_waitcnt vmcnt(1)
	v_add_u32_e32 v0, s42, v25
	buffer_load_dwordx2 v[4:5], v0, s[4:7], 0 offen
	v_add_u32_e32 v0, s41, v25
	buffer_load_dwordx2 v[6:7], v0, s[4:7], 0 offen
	s_add_i32 s41, s41, s35
	s_add_i32 s42, s42, s35
	s_waitcnt vmcnt(0)
	v_perm_b32 v1, v6, v4, s22
	v_perm_b32 v0, v6, v4, s23
	v_add_u32_e32 v4, s40, v25
	buffer_load_dwordx2 v[8:9], v4, s[4:7], 0 offen
	v_add_u32_e32 v4, s39, v25
	buffer_load_dwordx2 v[10:11], v4, s[4:7], 0 offen
	v_perm_b32 v3, v7, v5, s22
	v_perm_b32 v2, v7, v5, s23
	s_add_i32 s39, s39, s35
	s_add_i32 s40, s40, s35
	s_waitcnt vmcnt(0)
	v_perm_b32 v5, v8, v10, s22
	v_perm_b32 v4, v8, v10, s23
	v_add_u32_e32 v8, s31, v24
	buffer_load_dwordx2 v[12:13], v8, s[8:11], 0 offen
	v_add_u32_e32 v8, s30, v24
	buffer_load_dwordx2 v[14:15], v8, s[8:11], 0 offen
	v_perm_b32 v7, v9, v11, s22
	v_perm_b32 v6, v9, v11, s23
	s_add_i32 s30, s30, s24
	s_add_i32 s31, s31, s24
	s_waitcnt vmcnt(0)
	v_perm_b32 v9, v14, v12, s22
	v_perm_b32 v8, v14, v12, s23
	v_add_u32_e32 v12, s29, v24
	buffer_load_dwordx2 v[89:90], v12, s[8:11], 0 offen
	v_add_u32_e32 v12, s28, v24
	buffer_load_dwordx2 v[91:92], v12, s[8:11], 0 offen
	v_perm_b32 v11, v15, v13, s22
	v_perm_b32 v10, v15, v13, s23
	s_waitcnt vmcnt(0) lgkmcnt(0)
	s_barrier
	s_add_i32 s28, s28, s24
	s_add_i32 s29, s29, s24
	v_perm_b32 v15, v90, v92, s22
	v_perm_b32 v13, v89, v91, s22
	;; [unrolled: 1-line block ×4, first 2 shown]
	ds_read_b128 v[89:92], v22
	ds_read_b128 v[93:96], v23 offset:16384
	ds_read_b128 v[97:100], v23 offset:16640
	;; [unrolled: 1-line block ×3, first 2 shown]
	s_waitcnt lgkmcnt(2)
	v_dot2_f32_f16 v88, v89, v93, v88
	v_dot2_f32_f16 v87, v89, v94, v87
	;; [unrolled: 1-line block ×16, first 2 shown]
	s_waitcnt lgkmcnt(1)
	v_dot2_f32_f16 v80, v89, v97, v80
	v_dot2_f32_f16 v79, v89, v98, v79
	;; [unrolled: 1-line block ×16, first 2 shown]
	ds_read_b128 v[49:52], v22 offset:512
	s_waitcnt lgkmcnt(1)
	v_dot2_f32_f16 v105, v101, v93, v37
	v_dot2_f32_f16 v106, v101, v94, v36
	v_dot2_f32_f16 v107, v101, v95, v35
	v_dot2_f32_f16 v108, v101, v96, v34
	v_dot2_f32_f16 v109, v102, v93, v33
	v_dot2_f32_f16 v110, v102, v94, v32
	v_dot2_f32_f16 v111, v102, v95, v31
	v_dot2_f32_f16 v112, v102, v96, v30
	v_dot2_f32_f16 v53, v103, v93, v53
	v_dot2_f32_f16 v54, v103, v94, v54
	v_dot2_f32_f16 v55, v103, v95, v55
	v_dot2_f32_f16 v56, v103, v96, v56
	v_dot2_f32_f16 v58, v104, v93, v58
	v_dot2_f32_f16 v59, v104, v94, v59
	v_dot2_f32_f16 v60, v104, v95, v60
	v_dot2_f32_f16 v61, v104, v96, v61
	ds_read_b128 v[30:33], v23 offset:16896
	v_dot2_f32_f16 v93, v101, v97, v29
	v_dot2_f32_f16 v94, v101, v98, v19
	;; [unrolled: 1-line block ×5, first 2 shown]
	ds_read_b128 v[16:19], v23 offset:17152
	ds_read_b128 v[34:37], v22 offset:768
	v_dot2_f32_f16 v113, v102, v98, v38
	v_dot2_f32_f16 v114, v102, v99, v39
	;; [unrolled: 1-line block ×11, first 2 shown]
	s_waitcnt lgkmcnt(2)
	v_dot2_f32_f16 v88, v49, v30, v88
	v_dot2_f32_f16 v87, v49, v31, v87
	;; [unrolled: 1-line block ×16, first 2 shown]
	s_waitcnt lgkmcnt(1)
	v_dot2_f32_f16 v80, v49, v16, v80
	v_dot2_f32_f16 v79, v49, v17, v79
	;; [unrolled: 1-line block ×16, first 2 shown]
	ds_read_b128 v[38:41], v22 offset:1024
	s_waitcnt lgkmcnt(1)
	v_dot2_f32_f16 v89, v34, v30, v105
	v_dot2_f32_f16 v90, v34, v31, v106
	;; [unrolled: 1-line block ×16, first 2 shown]
	ds_read_b128 v[29:32], v23 offset:17408
	v_dot2_f32_f16 v93, v34, v16, v93
	v_dot2_f32_f16 v94, v34, v17, v94
	;; [unrolled: 1-line block ×16, first 2 shown]
	ds_read_b128 v[16:19], v23 offset:17664
	ds_read_b128 v[33:36], v22 offset:1280
	s_waitcnt lgkmcnt(2)
	v_dot2_f32_f16 v88, v38, v29, v88
	v_dot2_f32_f16 v87, v38, v30, v87
	;; [unrolled: 1-line block ×16, first 2 shown]
	s_waitcnt lgkmcnt(1)
	v_dot2_f32_f16 v80, v38, v16, v80
	v_dot2_f32_f16 v79, v38, v17, v79
	;; [unrolled: 1-line block ×16, first 2 shown]
	ds_read_b128 v[37:40], v22 offset:1536
	s_waitcnt lgkmcnt(1)
	v_dot2_f32_f16 v52, v33, v29, v89
	v_dot2_f32_f16 v89, v33, v30, v90
	;; [unrolled: 1-line block ×16, first 2 shown]
	ds_read_b128 v[29:32], v23 offset:17920
	v_dot2_f32_f16 v93, v33, v16, v93
	v_dot2_f32_f16 v94, v33, v17, v94
	;; [unrolled: 1-line block ×16, first 2 shown]
	ds_read_b128 v[16:19], v23 offset:18176
	ds_read_b128 v[33:36], v22 offset:1792
	s_waitcnt lgkmcnt(2)
	v_dot2_f32_f16 v88, v37, v29, v88
	v_dot2_f32_f16 v87, v37, v30, v87
	;; [unrolled: 1-line block ×16, first 2 shown]
	s_waitcnt lgkmcnt(1)
	v_dot2_f32_f16 v80, v37, v16, v80
	v_dot2_f32_f16 v79, v37, v17, v79
	v_dot2_f32_f16 v78, v37, v18, v78
	v_dot2_f32_f16 v49, v37, v19, v49
	v_dot2_f32_f16 v72, v38, v16, v72
	v_dot2_f32_f16 v71, v38, v17, v71
	v_dot2_f32_f16 v70, v38, v18, v70
	v_dot2_f32_f16 v50, v38, v19, v50
	v_dot2_f32_f16 v64, v39, v16, v64
	v_dot2_f32_f16 v63, v39, v17, v63
	v_dot2_f32_f16 v62, v39, v18, v62
	v_dot2_f32_f16 v51, v39, v19, v51
	v_dot2_f32_f16 v57, v40, v16, v57
	v_dot2_f32_f16 v68, v40, v17, v68
	v_dot2_f32_f16 v76, v40, v18, v76
	v_dot2_f32_f16 v41, v40, v19, v41
	ds_read_b128 v[37:40], v22 offset:2048
	s_waitcnt lgkmcnt(1)
	v_dot2_f32_f16 v52, v33, v29, v52
	v_dot2_f32_f16 v89, v33, v30, v89
	;; [unrolled: 1-line block ×16, first 2 shown]
	ds_read_b128 v[29:32], v23 offset:18432
	v_dot2_f32_f16 v93, v33, v16, v93
	v_dot2_f32_f16 v94, v33, v17, v94
	;; [unrolled: 1-line block ×16, first 2 shown]
	ds_read_b128 v[16:19], v23 offset:18688
	ds_read_b128 v[33:36], v22 offset:2304
	s_waitcnt lgkmcnt(2)
	v_dot2_f32_f16 v88, v37, v29, v88
	v_dot2_f32_f16 v87, v37, v30, v87
	;; [unrolled: 1-line block ×16, first 2 shown]
	s_waitcnt lgkmcnt(1)
	v_dot2_f32_f16 v80, v37, v16, v80
	v_dot2_f32_f16 v79, v37, v17, v79
	;; [unrolled: 1-line block ×16, first 2 shown]
	ds_read_b128 v[37:40], v22 offset:2560
	s_waitcnt lgkmcnt(1)
	v_dot2_f32_f16 v52, v33, v29, v52
	v_dot2_f32_f16 v89, v33, v30, v89
	;; [unrolled: 1-line block ×16, first 2 shown]
	ds_read_b128 v[29:32], v23 offset:18944
	v_dot2_f32_f16 v93, v33, v16, v93
	v_dot2_f32_f16 v94, v33, v17, v94
	;; [unrolled: 1-line block ×16, first 2 shown]
	ds_read_b128 v[16:19], v23 offset:19200
	ds_read_b128 v[33:36], v22 offset:2816
	s_waitcnt lgkmcnt(2)
	v_dot2_f32_f16 v88, v37, v29, v88
	v_dot2_f32_f16 v87, v37, v30, v87
	v_dot2_f32_f16 v86, v37, v31, v86
	v_dot2_f32_f16 v85, v37, v32, v85
	v_dot2_f32_f16 v84, v38, v29, v84
	v_dot2_f32_f16 v83, v38, v30, v83
	v_dot2_f32_f16 v82, v38, v31, v82
	v_dot2_f32_f16 v81, v38, v32, v81
	v_dot2_f32_f16 v77, v39, v29, v77
	v_dot2_f32_f16 v75, v39, v30, v75
	v_dot2_f32_f16 v74, v39, v31, v74
	v_dot2_f32_f16 v73, v39, v32, v73
	v_dot2_f32_f16 v69, v40, v29, v69
	v_dot2_f32_f16 v67, v40, v30, v67
	v_dot2_f32_f16 v66, v40, v31, v66
	v_dot2_f32_f16 v65, v40, v32, v65
	s_waitcnt lgkmcnt(1)
	v_dot2_f32_f16 v80, v37, v16, v80
	v_dot2_f32_f16 v79, v37, v17, v79
	;; [unrolled: 1-line block ×16, first 2 shown]
	ds_read_b128 v[37:40], v22 offset:3072
	s_waitcnt lgkmcnt(1)
	v_dot2_f32_f16 v52, v33, v29, v52
	v_dot2_f32_f16 v89, v33, v30, v89
	;; [unrolled: 1-line block ×16, first 2 shown]
	ds_read_b128 v[29:32], v23 offset:19456
	v_dot2_f32_f16 v93, v33, v16, v93
	v_dot2_f32_f16 v94, v33, v17, v94
	;; [unrolled: 1-line block ×16, first 2 shown]
	ds_read_b128 v[16:19], v23 offset:19712
	ds_read_b128 v[33:36], v22 offset:3328
	s_waitcnt lgkmcnt(2)
	v_dot2_f32_f16 v88, v37, v29, v88
	v_dot2_f32_f16 v87, v37, v30, v87
	;; [unrolled: 1-line block ×16, first 2 shown]
	s_waitcnt lgkmcnt(1)
	v_dot2_f32_f16 v80, v37, v16, v80
	v_dot2_f32_f16 v79, v37, v17, v79
	;; [unrolled: 1-line block ×16, first 2 shown]
	ds_read_b128 v[37:40], v22 offset:3584
	s_waitcnt lgkmcnt(1)
	v_dot2_f32_f16 v52, v33, v29, v52
	v_dot2_f32_f16 v89, v33, v30, v89
	;; [unrolled: 1-line block ×16, first 2 shown]
	ds_read_b128 v[29:32], v23 offset:19968
	v_dot2_f32_f16 v93, v33, v16, v93
	v_dot2_f32_f16 v94, v33, v17, v94
	;; [unrolled: 1-line block ×16, first 2 shown]
	ds_read_b128 v[16:19], v23 offset:20224
	ds_read_b128 v[33:36], v22 offset:3840
	s_waitcnt lgkmcnt(2)
	v_dot2_f32_f16 v88, v37, v29, v88
	v_dot2_f32_f16 v87, v37, v30, v87
	;; [unrolled: 1-line block ×16, first 2 shown]
	s_waitcnt lgkmcnt(1)
	v_dot2_f32_f16 v80, v37, v16, v80
	v_dot2_f32_f16 v79, v37, v17, v79
	;; [unrolled: 1-line block ×16, first 2 shown]
	ds_read_b128 v[37:40], v22 offset:4096
	s_waitcnt lgkmcnt(1)
	v_dot2_f32_f16 v52, v33, v29, v52
	v_dot2_f32_f16 v89, v33, v30, v89
	;; [unrolled: 1-line block ×16, first 2 shown]
	ds_read_b128 v[29:32], v23 offset:20480
	v_dot2_f32_f16 v93, v33, v16, v93
	v_dot2_f32_f16 v94, v33, v17, v94
	;; [unrolled: 1-line block ×16, first 2 shown]
	ds_read_b128 v[16:19], v23 offset:20736
	ds_read_b128 v[33:36], v22 offset:4352
	s_waitcnt lgkmcnt(2)
	v_dot2_f32_f16 v88, v37, v29, v88
	v_dot2_f32_f16 v87, v37, v30, v87
	;; [unrolled: 1-line block ×16, first 2 shown]
	s_waitcnt lgkmcnt(1)
	v_dot2_f32_f16 v80, v37, v16, v80
	v_dot2_f32_f16 v79, v37, v17, v79
	v_dot2_f32_f16 v78, v37, v18, v78
	v_dot2_f32_f16 v49, v37, v19, v49
	v_dot2_f32_f16 v72, v38, v16, v72
	v_dot2_f32_f16 v71, v38, v17, v71
	v_dot2_f32_f16 v70, v38, v18, v70
	v_dot2_f32_f16 v50, v38, v19, v50
	v_dot2_f32_f16 v64, v39, v16, v64
	v_dot2_f32_f16 v63, v39, v17, v63
	v_dot2_f32_f16 v62, v39, v18, v62
	v_dot2_f32_f16 v51, v39, v19, v51
	v_dot2_f32_f16 v57, v40, v16, v57
	v_dot2_f32_f16 v68, v40, v17, v68
	v_dot2_f32_f16 v76, v40, v18, v76
	v_dot2_f32_f16 v41, v40, v19, v41
	ds_read_b128 v[37:40], v22 offset:4608
	s_waitcnt lgkmcnt(1)
	v_dot2_f32_f16 v52, v33, v29, v52
	v_dot2_f32_f16 v89, v33, v30, v89
	;; [unrolled: 1-line block ×16, first 2 shown]
	ds_read_b128 v[29:32], v23 offset:20992
	v_dot2_f32_f16 v93, v33, v16, v93
	v_dot2_f32_f16 v94, v33, v17, v94
	;; [unrolled: 1-line block ×16, first 2 shown]
	ds_read_b128 v[16:19], v23 offset:21248
	ds_read_b128 v[33:36], v22 offset:4864
	s_waitcnt lgkmcnt(2)
	v_dot2_f32_f16 v88, v37, v29, v88
	v_dot2_f32_f16 v87, v37, v30, v87
	;; [unrolled: 1-line block ×16, first 2 shown]
	s_waitcnt lgkmcnt(1)
	v_dot2_f32_f16 v80, v37, v16, v80
	v_dot2_f32_f16 v79, v37, v17, v79
	;; [unrolled: 1-line block ×16, first 2 shown]
	ds_read_b128 v[37:40], v22 offset:5120
	s_waitcnt lgkmcnt(1)
	v_dot2_f32_f16 v52, v33, v29, v52
	v_dot2_f32_f16 v89, v33, v30, v89
	;; [unrolled: 1-line block ×16, first 2 shown]
	ds_read_b128 v[29:32], v23 offset:21504
	v_dot2_f32_f16 v93, v33, v16, v93
	v_dot2_f32_f16 v94, v33, v17, v94
	;; [unrolled: 1-line block ×16, first 2 shown]
	ds_read_b128 v[16:19], v23 offset:21760
	ds_read_b128 v[33:36], v22 offset:5376
	s_waitcnt lgkmcnt(2)
	v_dot2_f32_f16 v88, v37, v29, v88
	v_dot2_f32_f16 v87, v37, v30, v87
	;; [unrolled: 1-line block ×16, first 2 shown]
	s_waitcnt lgkmcnt(1)
	v_dot2_f32_f16 v80, v37, v16, v80
	v_dot2_f32_f16 v79, v37, v17, v79
	;; [unrolled: 1-line block ×16, first 2 shown]
	ds_read_b128 v[37:40], v22 offset:5632
	s_waitcnt lgkmcnt(1)
	v_dot2_f32_f16 v52, v33, v29, v52
	v_dot2_f32_f16 v89, v33, v30, v89
	;; [unrolled: 1-line block ×16, first 2 shown]
	ds_read_b128 v[29:32], v23 offset:22016
	v_dot2_f32_f16 v93, v33, v16, v93
	v_dot2_f32_f16 v94, v33, v17, v94
	;; [unrolled: 1-line block ×16, first 2 shown]
	ds_read_b128 v[16:19], v23 offset:22272
	ds_read_b128 v[33:36], v22 offset:5888
	s_waitcnt lgkmcnt(2)
	v_dot2_f32_f16 v88, v37, v29, v88
	v_dot2_f32_f16 v87, v37, v30, v87
	v_dot2_f32_f16 v86, v37, v31, v86
	v_dot2_f32_f16 v85, v37, v32, v85
	v_dot2_f32_f16 v84, v38, v29, v84
	v_dot2_f32_f16 v83, v38, v30, v83
	v_dot2_f32_f16 v82, v38, v31, v82
	v_dot2_f32_f16 v81, v38, v32, v81
	v_dot2_f32_f16 v77, v39, v29, v77
	v_dot2_f32_f16 v75, v39, v30, v75
	v_dot2_f32_f16 v74, v39, v31, v74
	v_dot2_f32_f16 v73, v39, v32, v73
	v_dot2_f32_f16 v69, v40, v29, v69
	v_dot2_f32_f16 v67, v40, v30, v67
	v_dot2_f32_f16 v66, v40, v31, v66
	v_dot2_f32_f16 v65, v40, v32, v65
	s_waitcnt lgkmcnt(1)
	v_dot2_f32_f16 v80, v37, v16, v80
	v_dot2_f32_f16 v79, v37, v17, v79
	;; [unrolled: 1-line block ×16, first 2 shown]
	ds_read_b128 v[37:40], v22 offset:6144
	s_waitcnt lgkmcnt(1)
	v_dot2_f32_f16 v52, v33, v29, v52
	v_dot2_f32_f16 v89, v33, v30, v89
	;; [unrolled: 1-line block ×16, first 2 shown]
	ds_read_b128 v[29:32], v23 offset:22528
	v_dot2_f32_f16 v93, v33, v16, v93
	v_dot2_f32_f16 v94, v33, v17, v94
	;; [unrolled: 1-line block ×16, first 2 shown]
	ds_read_b128 v[16:19], v23 offset:22784
	ds_read_b128 v[33:36], v22 offset:6400
	s_waitcnt lgkmcnt(2)
	v_dot2_f32_f16 v88, v37, v29, v88
	v_dot2_f32_f16 v87, v37, v30, v87
	;; [unrolled: 1-line block ×16, first 2 shown]
	s_waitcnt lgkmcnt(1)
	v_dot2_f32_f16 v80, v37, v16, v80
	v_dot2_f32_f16 v79, v37, v17, v79
	;; [unrolled: 1-line block ×16, first 2 shown]
	ds_read_b128 v[37:40], v22 offset:6656
	s_waitcnt lgkmcnt(1)
	v_dot2_f32_f16 v52, v33, v29, v52
	v_dot2_f32_f16 v89, v33, v30, v89
	;; [unrolled: 1-line block ×16, first 2 shown]
	ds_read_b128 v[29:32], v23 offset:23040
	v_dot2_f32_f16 v93, v33, v16, v93
	v_dot2_f32_f16 v94, v33, v17, v94
	;; [unrolled: 1-line block ×16, first 2 shown]
	ds_read_b128 v[16:19], v23 offset:23296
	ds_read_b128 v[33:36], v22 offset:6912
	s_waitcnt lgkmcnt(2)
	v_dot2_f32_f16 v88, v37, v29, v88
	v_dot2_f32_f16 v87, v37, v30, v87
	;; [unrolled: 1-line block ×16, first 2 shown]
	s_waitcnt lgkmcnt(1)
	v_dot2_f32_f16 v80, v37, v16, v80
	v_dot2_f32_f16 v79, v37, v17, v79
	;; [unrolled: 1-line block ×16, first 2 shown]
	ds_read_b128 v[37:40], v22 offset:7168
	s_waitcnt lgkmcnt(1)
	v_dot2_f32_f16 v52, v33, v29, v52
	v_dot2_f32_f16 v89, v33, v30, v89
	;; [unrolled: 1-line block ×16, first 2 shown]
	ds_read_b128 v[29:32], v23 offset:23552
	v_dot2_f32_f16 v93, v33, v16, v93
	v_dot2_f32_f16 v94, v33, v17, v94
	;; [unrolled: 1-line block ×16, first 2 shown]
	ds_read_b128 v[16:19], v23 offset:23808
	ds_read_b128 v[33:36], v22 offset:7424
	s_waitcnt lgkmcnt(2)
	v_dot2_f32_f16 v88, v37, v29, v88
	v_dot2_f32_f16 v87, v37, v30, v87
	;; [unrolled: 1-line block ×16, first 2 shown]
	s_waitcnt lgkmcnt(1)
	v_dot2_f32_f16 v80, v37, v16, v80
	v_dot2_f32_f16 v79, v37, v17, v79
	;; [unrolled: 1-line block ×16, first 2 shown]
	ds_read_b128 v[37:40], v22 offset:7680
	s_waitcnt lgkmcnt(1)
	v_dot2_f32_f16 v52, v33, v29, v52
	v_dot2_f32_f16 v117, v33, v30, v89
	v_dot2_f32_f16 v118, v33, v31, v90
	v_dot2_f32_f16 v119, v33, v32, v91
	v_dot2_f32_f16 v120, v34, v29, v92
	v_dot2_f32_f16 v121, v34, v30, v97
	v_dot2_f32_f16 v122, v34, v31, v98
	v_dot2_f32_f16 v99, v34, v32, v99
	v_dot2_f32_f16 v53, v35, v29, v53
	v_dot2_f32_f16 v54, v35, v30, v54
	v_dot2_f32_f16 v55, v35, v31, v55
	v_dot2_f32_f16 v56, v35, v32, v56
	v_dot2_f32_f16 v58, v36, v29, v58
	v_dot2_f32_f16 v123, v36, v30, v59
	v_dot2_f32_f16 v124, v36, v31, v60
	v_dot2_f32_f16 v125, v36, v32, v61
	ds_read_b128 v[29:32], v23 offset:24064
	v_dot2_f32_f16 v126, v33, v16, v93
	v_dot2_f32_f16 v127, v33, v17, v94
	;; [unrolled: 1-line block ×4, first 2 shown]
	ds_read_b128 v[91:94], v23 offset:24320
	ds_read_b128 v[95:98], v22 offset:7936
	v_dot2_f32_f16 v100, v34, v16, v100
	v_dot2_f32_f16 v101, v34, v17, v101
	;; [unrolled: 1-line block ×6, first 2 shown]
	s_waitcnt lgkmcnt(2)
	v_dot2_f32_f16 v61, v37, v31, v86
	v_dot2_f32_f16 v62, v37, v32, v85
	;; [unrolled: 1-line block ×8, first 2 shown]
	s_waitcnt lgkmcnt(1)
	v_dot2_f32_f16 v83, v39, v91, v112
	v_dot2_f32_f16 v84, v39, v92, v113
	;; [unrolled: 1-line block ×4, first 2 shown]
	s_waitcnt lgkmcnt(0)
	v_dot2_f32_f16 v39, v98, v91, v16
	buffer_load_dword v16, off, s[44:47], 0 ; 4-byte Folded Reload
	s_waitcnt vmcnt(0)
	ds_write_b128 v16, v[0:3] offset:8192
	ds_write_b128 v16, v[4:7] offset:8704
	;; [unrolled: 1-line block ×4, first 2 shown]
	v_add_u32_e32 v0, s38, v25
	buffer_load_dwordx2 v[4:5], v0, s[4:7], 0 offen
	v_add_u32_e32 v0, s37, v25
	buffer_load_dwordx2 v[6:7], v0, s[4:7], 0 offen
	v_dot2_f32_f16 v42, v35, v17, v42
	v_dot2_f32_f16 v17, v36, v17, v46
	;; [unrolled: 1-line block ×57, first 2 shown]
	s_add_i32 s37, s37, s35
	s_add_i32 s38, s38, s35
	s_waitcnt vmcnt(0)
	v_perm_b32 v3, v7, v5, s22
	v_perm_b32 v1, v6, v4, s22
	;; [unrolled: 1-line block ×4, first 2 shown]
	buffer_store_dword v0, off, s[44:47], 0 offset:12 ; 4-byte Folded Spill
	s_nop 0
	buffer_store_dword v1, off, s[44:47], 0 offset:16 ; 4-byte Folded Spill
	buffer_store_dword v2, off, s[44:47], 0 offset:20 ; 4-byte Folded Spill
	;; [unrolled: 1-line block ×3, first 2 shown]
	v_add_u32_e32 v4, s36, v25
	buffer_load_dwordx2 v[8:9], v4, s[4:7], 0 offen
	v_add_u32_e32 v4, s34, v25
	buffer_load_dwordx2 v[10:11], v4, s[4:7], 0 offen
	s_add_i32 s34, s34, s35
	s_add_i32 s36, s36, s35
	s_waitcnt vmcnt(0)
	v_perm_b32 v3, v9, v11, s22
	v_perm_b32 v1, v8, v10, s22
	;; [unrolled: 1-line block ×4, first 2 shown]
	buffer_store_dword v0, off, s[44:47], 0 offset:28 ; 4-byte Folded Spill
	s_nop 0
	buffer_store_dword v1, off, s[44:47], 0 offset:32 ; 4-byte Folded Spill
	buffer_store_dword v2, off, s[44:47], 0 offset:36 ; 4-byte Folded Spill
	;; [unrolled: 1-line block ×3, first 2 shown]
	v_add_u32_e32 v8, s27, v24
	buffer_load_dwordx2 v[12:13], v8, s[8:11], 0 offen
	v_add_u32_e32 v8, s26, v24
	buffer_load_dwordx2 v[14:15], v8, s[8:11], 0 offen
	s_add_i32 s26, s26, s24
	s_add_i32 s27, s27, s24
	s_waitcnt vmcnt(0)
	v_perm_b32 v9, v14, v12, s22
	v_perm_b32 v8, v14, v12, s23
	v_add_u32_e32 v12, s25, v24
	buffer_load_dwordx2 v[16:17], v12, s[8:11], 0 offen
	v_add_u32_e32 v12, s15, v24
	buffer_load_dwordx2 v[91:92], v12, s[8:11], 0 offen
	v_perm_b32 v11, v15, v13, s22
	v_perm_b32 v10, v15, v13, s23
	s_waitcnt vmcnt(0) lgkmcnt(0)
	s_barrier
	s_add_i32 s15, s15, s24
	s_add_i32 s25, s25, s24
	s_cmp_lt_i32 s12, s13
	v_perm_b32 v15, v17, v92, s22
	v_perm_b32 v13, v16, v91, s22
	;; [unrolled: 1-line block ×4, first 2 shown]
	ds_read_b128 v[91:94], v22 offset:8192
	ds_read_b128 v[95:98], v23 offset:24576
	;; [unrolled: 1-line block ×5, first 2 shown]
	s_waitcnt lgkmcnt(3)
	v_dot2_f32_f16 v20, v91, v95, v59
	v_dot2_f32_f16 v21, v91, v96, v60
	v_dot2_f32_f16 v59, v91, v97, v61
	v_dot2_f32_f16 v60, v91, v98, v62
	v_dot2_f32_f16 v113, v92, v95, v63
	v_dot2_f32_f16 v114, v92, v96, v64
	v_dot2_f32_f16 v115, v92, v97, v65
	v_dot2_f32_f16 v116, v92, v98, v66
	v_dot2_f32_f16 v117, v93, v95, v67
	v_dot2_f32_f16 v118, v93, v96, v68
	v_dot2_f32_f16 v119, v93, v97, v69
	v_dot2_f32_f16 v120, v93, v98, v70
	v_dot2_f32_f16 v121, v94, v95, v71
	v_dot2_f32_f16 v122, v94, v96, v72
	v_dot2_f32_f16 v123, v94, v97, v73
	v_dot2_f32_f16 v124, v94, v98, v74
	s_waitcnt lgkmcnt(2)
	v_dot2_f32_f16 v125, v91, v99, v75
	v_dot2_f32_f16 v126, v91, v100, v76
	v_dot2_f32_f16 v127, v91, v101, v77
	v_dot2_f32_f16 v25, v91, v102, v78
	v_dot2_f32_f16 v27, v92, v99, v79
	v_dot2_f32_f16 v24, v92, v100, v80
	v_dot2_f32_f16 v26, v92, v101, v81
	v_dot2_f32_f16 v28, v92, v102, v82
	v_dot2_f32_f16 v0, v93, v99, v83
	v_dot2_f32_f16 v1, v93, v100, v84
	v_dot2_f32_f16 v2, v93, v101, v85
	v_dot2_f32_f16 v3, v93, v102, v86
	v_dot2_f32_f16 v4, v94, v99, v87
	v_dot2_f32_f16 v5, v94, v100, v88
	v_dot2_f32_f16 v6, v94, v101, v89
	v_dot2_f32_f16 v7, v94, v102, v90
	;; [unrolled: 17-line block ×3, first 2 shown]
	ds_read_b128 v[93:96], v23 offset:25088
	v_dot2_f32_f16 v77, v103, v99, v111
	v_dot2_f32_f16 v78, v103, v100, v112
	;; [unrolled: 1-line block ×8, first 2 shown]
	ds_read_b128 v[16:19], v23 offset:25344
	ds_read_b128 v[97:100], v22 offset:8960
	v_dot2_f32_f16 v79, v103, v101, v29
	v_dot2_f32_f16 v80, v103, v102, v30
	;; [unrolled: 1-line block ×8, first 2 shown]
	s_waitcnt lgkmcnt(2)
	v_dot2_f32_f16 v29, v107, v93, v20
	v_dot2_f32_f16 v30, v107, v94, v21
	;; [unrolled: 1-line block ×16, first 2 shown]
	s_waitcnt lgkmcnt(1)
	v_dot2_f32_f16 v45, v107, v16, v125
	v_dot2_f32_f16 v46, v107, v17, v126
	;; [unrolled: 1-line block ×16, first 2 shown]
	ds_read_b128 v[101:104], v22 offset:9216
	s_waitcnt lgkmcnt(1)
	v_dot2_f32_f16 v61, v97, v93, v61
	v_dot2_f32_f16 v62, v97, v94, v62
	;; [unrolled: 1-line block ×16, first 2 shown]
	ds_read_b128 v[93:96], v23 offset:25600
	v_dot2_f32_f16 v77, v97, v16, v77
	v_dot2_f32_f16 v78, v97, v17, v78
	;; [unrolled: 1-line block ×16, first 2 shown]
	ds_read_b128 v[16:19], v23 offset:25856
	ds_read_b128 v[97:100], v22 offset:9472
	s_waitcnt lgkmcnt(2)
	v_dot2_f32_f16 v29, v101, v93, v29
	v_dot2_f32_f16 v30, v101, v94, v30
	;; [unrolled: 1-line block ×16, first 2 shown]
	s_waitcnt lgkmcnt(1)
	v_dot2_f32_f16 v45, v101, v16, v45
	v_dot2_f32_f16 v46, v101, v17, v46
	;; [unrolled: 1-line block ×16, first 2 shown]
	ds_read_b128 v[101:104], v22 offset:9728
	s_waitcnt lgkmcnt(1)
	v_dot2_f32_f16 v61, v97, v93, v61
	v_dot2_f32_f16 v62, v97, v94, v62
	;; [unrolled: 1-line block ×16, first 2 shown]
	ds_read_b128 v[93:96], v23 offset:26112
	v_dot2_f32_f16 v77, v97, v16, v77
	v_dot2_f32_f16 v78, v97, v17, v78
	v_dot2_f32_f16 v79, v97, v18, v79
	v_dot2_f32_f16 v80, v97, v19, v80
	v_dot2_f32_f16 v81, v98, v16, v81
	v_dot2_f32_f16 v82, v98, v17, v82
	v_dot2_f32_f16 v83, v98, v18, v83
	v_dot2_f32_f16 v84, v98, v19, v84
	v_dot2_f32_f16 v85, v99, v16, v85
	v_dot2_f32_f16 v86, v99, v17, v86
	v_dot2_f32_f16 v87, v99, v18, v87
	v_dot2_f32_f16 v88, v99, v19, v88
	v_dot2_f32_f16 v89, v100, v16, v89
	v_dot2_f32_f16 v90, v100, v17, v90
	v_dot2_f32_f16 v91, v100, v18, v91
	v_dot2_f32_f16 v92, v100, v19, v92
	ds_read_b128 v[16:19], v23 offset:26368
	ds_read_b128 v[97:100], v22 offset:9984
	s_waitcnt lgkmcnt(2)
	v_dot2_f32_f16 v29, v101, v93, v29
	v_dot2_f32_f16 v30, v101, v94, v30
	;; [unrolled: 1-line block ×16, first 2 shown]
	s_waitcnt lgkmcnt(1)
	v_dot2_f32_f16 v45, v101, v16, v45
	v_dot2_f32_f16 v46, v101, v17, v46
	;; [unrolled: 1-line block ×16, first 2 shown]
	ds_read_b128 v[101:104], v22 offset:10240
	s_waitcnt lgkmcnt(1)
	v_dot2_f32_f16 v61, v97, v93, v61
	v_dot2_f32_f16 v62, v97, v94, v62
	;; [unrolled: 1-line block ×16, first 2 shown]
	ds_read_b128 v[93:96], v23 offset:26624
	v_dot2_f32_f16 v77, v97, v16, v77
	v_dot2_f32_f16 v78, v97, v17, v78
	;; [unrolled: 1-line block ×16, first 2 shown]
	ds_read_b128 v[16:19], v23 offset:26880
	ds_read_b128 v[97:100], v22 offset:10496
	s_waitcnt lgkmcnt(2)
	v_dot2_f32_f16 v29, v101, v93, v29
	v_dot2_f32_f16 v30, v101, v94, v30
	;; [unrolled: 1-line block ×16, first 2 shown]
	s_waitcnt lgkmcnt(1)
	v_dot2_f32_f16 v45, v101, v16, v45
	v_dot2_f32_f16 v46, v101, v17, v46
	;; [unrolled: 1-line block ×16, first 2 shown]
	ds_read_b128 v[101:104], v22 offset:10752
	s_waitcnt lgkmcnt(1)
	v_dot2_f32_f16 v61, v97, v93, v61
	v_dot2_f32_f16 v62, v97, v94, v62
	v_dot2_f32_f16 v63, v97, v95, v63
	v_dot2_f32_f16 v64, v97, v96, v64
	v_dot2_f32_f16 v65, v98, v93, v65
	v_dot2_f32_f16 v66, v98, v94, v66
	v_dot2_f32_f16 v67, v98, v95, v67
	v_dot2_f32_f16 v68, v98, v96, v68
	v_dot2_f32_f16 v69, v99, v93, v69
	v_dot2_f32_f16 v70, v99, v94, v70
	v_dot2_f32_f16 v71, v99, v95, v71
	v_dot2_f32_f16 v72, v99, v96, v72
	v_dot2_f32_f16 v73, v100, v93, v73
	v_dot2_f32_f16 v74, v100, v94, v74
	v_dot2_f32_f16 v75, v100, v95, v75
	v_dot2_f32_f16 v76, v100, v96, v76
	ds_read_b128 v[93:96], v23 offset:27136
	v_dot2_f32_f16 v77, v97, v16, v77
	v_dot2_f32_f16 v78, v97, v17, v78
	;; [unrolled: 1-line block ×16, first 2 shown]
	ds_read_b128 v[16:19], v23 offset:27392
	ds_read_b128 v[97:100], v22 offset:11008
	s_waitcnt lgkmcnt(2)
	v_dot2_f32_f16 v29, v101, v93, v29
	v_dot2_f32_f16 v30, v101, v94, v30
	;; [unrolled: 1-line block ×16, first 2 shown]
	s_waitcnt lgkmcnt(1)
	v_dot2_f32_f16 v45, v101, v16, v45
	v_dot2_f32_f16 v46, v101, v17, v46
	;; [unrolled: 1-line block ×16, first 2 shown]
	ds_read_b128 v[101:104], v22 offset:11264
	s_waitcnt lgkmcnt(1)
	v_dot2_f32_f16 v61, v97, v93, v61
	v_dot2_f32_f16 v62, v97, v94, v62
	;; [unrolled: 1-line block ×16, first 2 shown]
	ds_read_b128 v[93:96], v23 offset:27648
	v_dot2_f32_f16 v77, v97, v16, v77
	v_dot2_f32_f16 v78, v97, v17, v78
	;; [unrolled: 1-line block ×16, first 2 shown]
	ds_read_b128 v[16:19], v23 offset:27904
	ds_read_b128 v[97:100], v22 offset:11520
	s_waitcnt lgkmcnt(2)
	v_dot2_f32_f16 v29, v101, v93, v29
	v_dot2_f32_f16 v30, v101, v94, v30
	;; [unrolled: 1-line block ×16, first 2 shown]
	s_waitcnt lgkmcnt(1)
	v_dot2_f32_f16 v45, v101, v16, v45
	v_dot2_f32_f16 v46, v101, v17, v46
	;; [unrolled: 1-line block ×16, first 2 shown]
	ds_read_b128 v[101:104], v22 offset:11776
	s_waitcnt lgkmcnt(1)
	v_dot2_f32_f16 v61, v97, v93, v61
	v_dot2_f32_f16 v62, v97, v94, v62
	;; [unrolled: 1-line block ×16, first 2 shown]
	ds_read_b128 v[93:96], v23 offset:28160
	v_dot2_f32_f16 v77, v97, v16, v77
	v_dot2_f32_f16 v78, v97, v17, v78
	;; [unrolled: 1-line block ×16, first 2 shown]
	ds_read_b128 v[16:19], v23 offset:28416
	ds_read_b128 v[97:100], v22 offset:12032
	s_waitcnt lgkmcnt(2)
	v_dot2_f32_f16 v29, v101, v93, v29
	v_dot2_f32_f16 v30, v101, v94, v30
	;; [unrolled: 1-line block ×16, first 2 shown]
	s_waitcnt lgkmcnt(1)
	v_dot2_f32_f16 v45, v101, v16, v45
	v_dot2_f32_f16 v46, v101, v17, v46
	v_dot2_f32_f16 v47, v101, v18, v47
	v_dot2_f32_f16 v48, v101, v19, v48
	v_dot2_f32_f16 v49, v102, v16, v49
	v_dot2_f32_f16 v50, v102, v17, v50
	v_dot2_f32_f16 v51, v102, v18, v51
	v_dot2_f32_f16 v52, v102, v19, v52
	v_dot2_f32_f16 v53, v103, v16, v53
	v_dot2_f32_f16 v54, v103, v17, v54
	v_dot2_f32_f16 v55, v103, v18, v55
	v_dot2_f32_f16 v56, v103, v19, v56
	v_dot2_f32_f16 v57, v104, v16, v57
	v_dot2_f32_f16 v58, v104, v17, v58
	v_dot2_f32_f16 v59, v104, v18, v59
	v_dot2_f32_f16 v60, v104, v19, v60
	ds_read_b128 v[101:104], v22 offset:12288
	s_waitcnt lgkmcnt(1)
	v_dot2_f32_f16 v61, v97, v93, v61
	v_dot2_f32_f16 v62, v97, v94, v62
	;; [unrolled: 1-line block ×16, first 2 shown]
	ds_read_b128 v[93:96], v23 offset:28672
	v_dot2_f32_f16 v77, v97, v16, v77
	v_dot2_f32_f16 v78, v97, v17, v78
	;; [unrolled: 1-line block ×16, first 2 shown]
	ds_read_b128 v[16:19], v23 offset:28928
	ds_read_b128 v[97:100], v22 offset:12544
	s_waitcnt lgkmcnt(2)
	v_dot2_f32_f16 v29, v101, v93, v29
	v_dot2_f32_f16 v30, v101, v94, v30
	v_dot2_f32_f16 v31, v101, v95, v31
	v_dot2_f32_f16 v32, v101, v96, v32
	v_dot2_f32_f16 v33, v102, v93, v33
	v_dot2_f32_f16 v34, v102, v94, v34
	v_dot2_f32_f16 v35, v102, v95, v35
	v_dot2_f32_f16 v36, v102, v96, v36
	v_dot2_f32_f16 v37, v103, v93, v37
	v_dot2_f32_f16 v38, v103, v94, v38
	v_dot2_f32_f16 v39, v103, v95, v39
	v_dot2_f32_f16 v40, v103, v96, v40
	v_dot2_f32_f16 v41, v104, v93, v41
	v_dot2_f32_f16 v42, v104, v94, v42
	v_dot2_f32_f16 v43, v104, v95, v43
	v_dot2_f32_f16 v44, v104, v96, v44
	s_waitcnt lgkmcnt(1)
	v_dot2_f32_f16 v45, v101, v16, v45
	v_dot2_f32_f16 v46, v101, v17, v46
	;; [unrolled: 1-line block ×16, first 2 shown]
	ds_read_b128 v[101:104], v22 offset:12800
	s_waitcnt lgkmcnt(1)
	v_dot2_f32_f16 v61, v97, v93, v61
	v_dot2_f32_f16 v62, v97, v94, v62
	;; [unrolled: 1-line block ×16, first 2 shown]
	ds_read_b128 v[93:96], v23 offset:29184
	v_dot2_f32_f16 v77, v97, v16, v77
	v_dot2_f32_f16 v78, v97, v17, v78
	;; [unrolled: 1-line block ×16, first 2 shown]
	ds_read_b128 v[16:19], v23 offset:29440
	ds_read_b128 v[97:100], v22 offset:13056
	s_waitcnt lgkmcnt(2)
	v_dot2_f32_f16 v29, v101, v93, v29
	v_dot2_f32_f16 v30, v101, v94, v30
	v_dot2_f32_f16 v31, v101, v95, v31
	v_dot2_f32_f16 v32, v101, v96, v32
	v_dot2_f32_f16 v33, v102, v93, v33
	v_dot2_f32_f16 v34, v102, v94, v34
	v_dot2_f32_f16 v35, v102, v95, v35
	v_dot2_f32_f16 v36, v102, v96, v36
	v_dot2_f32_f16 v37, v103, v93, v37
	v_dot2_f32_f16 v38, v103, v94, v38
	v_dot2_f32_f16 v39, v103, v95, v39
	v_dot2_f32_f16 v40, v103, v96, v40
	v_dot2_f32_f16 v41, v104, v93, v41
	v_dot2_f32_f16 v42, v104, v94, v42
	v_dot2_f32_f16 v43, v104, v95, v43
	v_dot2_f32_f16 v44, v104, v96, v44
	s_waitcnt lgkmcnt(1)
	v_dot2_f32_f16 v45, v101, v16, v45
	v_dot2_f32_f16 v46, v101, v17, v46
	;; [unrolled: 1-line block ×16, first 2 shown]
	ds_read_b128 v[101:104], v22 offset:13312
	s_waitcnt lgkmcnt(1)
	v_dot2_f32_f16 v61, v97, v93, v61
	v_dot2_f32_f16 v62, v97, v94, v62
	;; [unrolled: 1-line block ×16, first 2 shown]
	ds_read_b128 v[93:96], v23 offset:29696
	v_dot2_f32_f16 v77, v97, v16, v77
	v_dot2_f32_f16 v78, v97, v17, v78
	;; [unrolled: 1-line block ×16, first 2 shown]
	ds_read_b128 v[16:19], v23 offset:29952
	ds_read_b128 v[97:100], v22 offset:13568
	s_waitcnt lgkmcnt(2)
	v_dot2_f32_f16 v29, v101, v93, v29
	v_dot2_f32_f16 v30, v101, v94, v30
	;; [unrolled: 1-line block ×16, first 2 shown]
	s_waitcnt lgkmcnt(1)
	v_dot2_f32_f16 v45, v101, v16, v45
	v_dot2_f32_f16 v46, v101, v17, v46
	;; [unrolled: 1-line block ×16, first 2 shown]
	ds_read_b128 v[101:104], v22 offset:13824
	s_waitcnt lgkmcnt(1)
	v_dot2_f32_f16 v61, v97, v93, v61
	v_dot2_f32_f16 v62, v97, v94, v62
	;; [unrolled: 1-line block ×16, first 2 shown]
	ds_read_b128 v[93:96], v23 offset:30208
	v_dot2_f32_f16 v77, v97, v16, v77
	v_dot2_f32_f16 v78, v97, v17, v78
	;; [unrolled: 1-line block ×16, first 2 shown]
	ds_read_b128 v[16:19], v23 offset:30464
	ds_read_b128 v[97:100], v22 offset:14080
	s_waitcnt lgkmcnt(2)
	v_dot2_f32_f16 v29, v101, v93, v29
	v_dot2_f32_f16 v30, v101, v94, v30
	;; [unrolled: 1-line block ×16, first 2 shown]
	s_waitcnt lgkmcnt(1)
	v_dot2_f32_f16 v45, v101, v16, v45
	v_dot2_f32_f16 v46, v101, v17, v46
	;; [unrolled: 1-line block ×16, first 2 shown]
	ds_read_b128 v[101:104], v22 offset:14336
	s_waitcnt lgkmcnt(1)
	v_dot2_f32_f16 v61, v97, v93, v61
	v_dot2_f32_f16 v62, v97, v94, v62
	v_dot2_f32_f16 v63, v97, v95, v63
	v_dot2_f32_f16 v64, v97, v96, v64
	v_dot2_f32_f16 v65, v98, v93, v65
	v_dot2_f32_f16 v66, v98, v94, v66
	v_dot2_f32_f16 v67, v98, v95, v67
	v_dot2_f32_f16 v68, v98, v96, v68
	v_dot2_f32_f16 v69, v99, v93, v69
	v_dot2_f32_f16 v70, v99, v94, v70
	v_dot2_f32_f16 v71, v99, v95, v71
	v_dot2_f32_f16 v72, v99, v96, v72
	v_dot2_f32_f16 v73, v100, v93, v73
	v_dot2_f32_f16 v74, v100, v94, v74
	v_dot2_f32_f16 v75, v100, v95, v75
	v_dot2_f32_f16 v76, v100, v96, v76
	ds_read_b128 v[93:96], v23 offset:30720
	v_dot2_f32_f16 v77, v97, v16, v77
	v_dot2_f32_f16 v78, v97, v17, v78
	;; [unrolled: 1-line block ×16, first 2 shown]
	ds_read_b128 v[16:19], v23 offset:30976
	ds_read_b128 v[97:100], v22 offset:14592
	s_waitcnt lgkmcnt(2)
	v_dot2_f32_f16 v29, v101, v93, v29
	v_dot2_f32_f16 v30, v101, v94, v30
	;; [unrolled: 1-line block ×16, first 2 shown]
	s_waitcnt lgkmcnt(1)
	v_dot2_f32_f16 v45, v101, v16, v45
	v_dot2_f32_f16 v46, v101, v17, v46
	;; [unrolled: 1-line block ×16, first 2 shown]
	ds_read_b128 v[101:104], v22 offset:14848
	s_waitcnt lgkmcnt(1)
	v_dot2_f32_f16 v61, v97, v93, v61
	v_dot2_f32_f16 v62, v97, v94, v62
	;; [unrolled: 1-line block ×16, first 2 shown]
	ds_read_b128 v[93:96], v23 offset:31232
	v_dot2_f32_f16 v77, v97, v16, v77
	v_dot2_f32_f16 v78, v97, v17, v78
	;; [unrolled: 1-line block ×16, first 2 shown]
	ds_read_b128 v[16:19], v23 offset:31488
	ds_read_b128 v[97:100], v22 offset:15104
	s_waitcnt lgkmcnt(2)
	v_dot2_f32_f16 v29, v101, v93, v29
	v_dot2_f32_f16 v30, v101, v94, v30
	;; [unrolled: 1-line block ×16, first 2 shown]
	s_waitcnt lgkmcnt(1)
	v_dot2_f32_f16 v45, v101, v16, v45
	v_dot2_f32_f16 v46, v101, v17, v46
	;; [unrolled: 1-line block ×16, first 2 shown]
	ds_read_b128 v[101:104], v22 offset:15360
	s_waitcnt lgkmcnt(1)
	v_dot2_f32_f16 v0, v97, v93, v61
	v_dot2_f32_f16 v1, v97, v94, v62
	;; [unrolled: 1-line block ×4, first 2 shown]
	ds_read_b128 v[61:64], v23 offset:31744
	v_dot2_f32_f16 v4, v98, v93, v65
	v_dot2_f32_f16 v5, v98, v94, v66
	;; [unrolled: 1-line block ×28, first 2 shown]
	ds_read_b128 v[16:19], v23 offset:32000
	ds_read_b128 v[65:68], v22 offset:15616
	s_waitcnt lgkmcnt(2)
	v_dot2_f32_f16 v86, v101, v61, v29
	v_dot2_f32_f16 v87, v101, v62, v30
	v_dot2_f32_f16 v93, v101, v63, v31
	v_dot2_f32_f16 v94, v101, v64, v32
	v_dot2_f32_f16 v95, v103, v62, v38
	v_dot2_f32_f16 v96, v103, v63, v39
	v_dot2_f32_f16 v97, v103, v64, v40
	v_dot2_f32_f16 v98, v104, v61, v41
	s_waitcnt lgkmcnt(1)
	v_dot2_f32_f16 v99, v101, v16, v45
	v_dot2_f32_f16 v100, v101, v17, v46
	;; [unrolled: 1-line block ×4, first 2 shown]
	ds_read_b128 v[29:32], v22 offset:15872
	ds_read_b128 v[38:41], v23 offset:32256
	;; [unrolled: 1-line block ×4, first 2 shown]
	v_dot2_f32_f16 v33, v102, v61, v33
	v_dot2_f32_f16 v34, v102, v62, v34
	v_dot2_f32_f16 v35, v102, v63, v35
	v_dot2_f32_f16 v36, v102, v64, v36
	v_dot2_f32_f16 v37, v103, v61, v37
	v_dot2_f32_f16 v42, v104, v62, v42
	v_dot2_f32_f16 v43, v104, v63, v43
	v_dot2_f32_f16 v44, v104, v64, v44
	v_dot2_f32_f16 v49, v102, v16, v49
	v_dot2_f32_f16 v50, v102, v17, v50
	v_dot2_f32_f16 v51, v102, v18, v51
	v_dot2_f32_f16 v52, v102, v19, v52
	v_dot2_f32_f16 v53, v103, v16, v53
	v_dot2_f32_f16 v54, v103, v17, v54
	v_dot2_f32_f16 v55, v103, v18, v55
	v_dot2_f32_f16 v56, v103, v19, v56
	v_dot2_f32_f16 v102, v104, v16, v57
	v_dot2_f32_f16 v58, v104, v17, v58
	v_dot2_f32_f16 v59, v104, v18, v59
	v_dot2_f32_f16 v60, v104, v19, v60
	s_waitcnt lgkmcnt(4)
	v_dot2_f32_f16 v0, v65, v61, v0
	v_dot2_f32_f16 v1, v65, v62, v1
	;; [unrolled: 1-line block ×32, first 2 shown]
	s_waitcnt lgkmcnt(2)
	v_dot2_f32_f16 v84, v30, v38, v33
	v_dot2_f32_f16 v83, v30, v39, v34
	;; [unrolled: 1-line block ×12, first 2 shown]
	s_waitcnt lgkmcnt(1)
	v_dot2_f32_f16 v72, v30, v45, v49
	v_dot2_f32_f16 v71, v30, v46, v50
	;; [unrolled: 1-line block ×12, first 2 shown]
	s_waitcnt lgkmcnt(0)
	v_dot2_f32_f16 v37, v89, v38, v0
	v_dot2_f32_f16 v36, v89, v39, v1
	buffer_load_dword v1, off, s[44:47], 0 offset:8 ; 4-byte Folded Reload
	v_dot2_f32_f16 v34, v89, v41, v3
	buffer_load_dword v3, off, s[44:47], 0 offset:4 ; 4-byte Folded Reload
	v_dot2_f32_f16 v33, v90, v38, v4
	v_dot2_f32_f16 v32, v90, v39, v5
	;; [unrolled: 1-line block ×4, first 2 shown]
	buffer_load_dword v0, off, s[44:47], 0  ; 4-byte Folded Reload
	buffer_load_dword v4, off, s[44:47], 0 offset:12 ; 4-byte Folded Reload
	buffer_load_dword v5, off, s[44:47], 0 offset:16 ; 4-byte Folded Reload
	;; [unrolled: 1-line block ×4, first 2 shown]
	v_dot2_f32_f16 v88, v29, v38, v86
	v_dot2_f32_f16 v87, v29, v39, v87
	;; [unrolled: 1-line block ×33, first 2 shown]
	s_waitcnt vmcnt(6)
	v_add_u32_e32 v1, s33, v1
	s_waitcnt vmcnt(5)
	v_add_u32_e32 v3, s14, v3
	s_waitcnt vmcnt(0)
	ds_write_b128 v0, v[4:7]
	buffer_load_dword v4, off, s[44:47], 0 offset:28 ; 4-byte Folded Reload
	buffer_load_dword v5, off, s[44:47], 0 offset:32 ; 4-byte Folded Reload
	;; [unrolled: 1-line block ×4, first 2 shown]
	s_waitcnt vmcnt(0)
	ds_write_b128 v0, v[4:7] offset:512
	ds_write_b128 v0, v[8:11] offset:16384
	;; [unrolled: 1-line block ×3, first 2 shown]
	s_cbranch_scc1 .LBB1_1
; %bb.2:
	s_mul_i32 s13, s19, 3
	s_mul_i32 s15, s19, 30
	s_add_i32 s22, s15, s20
	s_add_i32 s15, s15, s13
	s_mul_i32 s12, s18, 3
	s_mul_i32 s14, s18, 30
	v_add_lshl_u32 v0, s22, v1, 1
	v_add_u32_e32 v1, s15, v1
	s_add_i32 s23, s14, s21
	s_waitcnt lgkmcnt(0)
	s_barrier
	v_lshlrev_b32_e32 v2, 1, v1
	buffer_load_dwordx2 v[4:5], v0, s[4:7], 0 offen
	buffer_load_dwordx2 v[6:7], v2, s[4:7], 0 offen
	v_add_u32_e32 v0, s20, v1
	s_add_i32 s14, s14, s12
	v_lshlrev_b32_e32 v1, 1, v0
	v_subrev_u32_e32 v0, s19, v0
	v_add_lshl_u32 v2, s23, v3, 1
	v_add_u32_e32 v3, s14, v3
	v_lshlrev_b32_e32 v0, 1, v0
	v_lshlrev_b32_e32 v10, 1, v3
	buffer_load_dwordx2 v[8:9], v2, s[8:11], 0 offen
	s_nop 0
	buffer_load_dwordx2 v[10:11], v10, s[8:11], 0 offen
	s_nop 0
	buffer_load_dwordx2 v[12:13], v1, s[4:7], 0 offen
	buffer_load_dwordx2 v[14:15], v0, s[4:7], 0 offen
	v_add_u32_e32 v0, s21, v3
	v_lshlrev_b32_e32 v1, 1, v0
	v_subrev_u32_e32 v0, s18, v0
	v_lshlrev_b32_e32 v0, 1, v0
	buffer_load_dwordx2 v[101:102], v1, s[8:11], 0 offen
	buffer_load_dwordx2 v[103:104], v0, s[8:11], 0 offen
	ds_read_b128 v[0:3], v22
	ds_read_b128 v[25:28], v23 offset:16384
	ds_read_b128 v[89:92], v23 offset:16640
	;; [unrolled: 1-line block ×4, first 2 shown]
	s_mov_b32 s4, 0x7060302
	s_mov_b32 s5, 0x5040100
	s_waitcnt lgkmcnt(2)
	v_dot2_f32_f16 v80, v0, v89, v80
	v_dot2_f32_f16 v20, v0, v25, v88
	;; [unrolled: 1-line block ×32, first 2 shown]
	s_waitcnt lgkmcnt(1)
	v_dot2_f32_f16 v37, v93, v25, v37
	v_dot2_f32_f16 v86, v93, v26, v36
	;; [unrolled: 1-line block ×28, first 2 shown]
	s_lshl_b32 s2, s2, 1
	s_waitcnt vmcnt(6)
	v_perm_b32 v3, v7, v5, s4
	v_perm_b32 v1, v6, v4, s4
	;; [unrolled: 1-line block ×4, first 2 shown]
	s_and_b32 s1, s1, 0xffff
	s_waitcnt vmcnt(4)
	v_perm_b32 v7, v11, v9, s4
	v_perm_b32 v5, v10, v8, s4
	v_perm_b32 v4, v10, v8, s5
	v_perm_b32 v6, v11, v9, s5
	s_waitcnt vmcnt(2)
	v_perm_b32 v11, v13, v15, s4
	v_perm_b32 v9, v12, v14, s4
	v_perm_b32 v8, v12, v14, s5
	v_perm_b32 v10, v13, v15, s5
	;; [unrolled: 5-line block ×3, first 2 shown]
	v_dot2_f32_f16 v101, v94, v25, v33
	v_dot2_f32_f16 v102, v94, v26, v32
	;; [unrolled: 1-line block ×4, first 2 shown]
	ds_read_b128 v[25:28], v23 offset:16896
	ds_read_b128 v[16:19], v23 offset:17152
	;; [unrolled: 1-line block ×4, first 2 shown]
	s_waitcnt lgkmcnt(3)
	v_dot2_f32_f16 v20, v97, v25, v20
	v_dot2_f32_f16 v21, v97, v26, v21
	v_dot2_f32_f16 v24, v97, v27, v24
	v_dot2_f32_f16 v85, v97, v28, v85
	v_dot2_f32_f16 v84, v98, v25, v84
	v_dot2_f32_f16 v83, v98, v26, v83
	v_dot2_f32_f16 v82, v98, v27, v82
	v_dot2_f32_f16 v81, v98, v28, v81
	v_dot2_f32_f16 v77, v99, v25, v77
	v_dot2_f32_f16 v75, v99, v26, v75
	v_dot2_f32_f16 v74, v99, v27, v74
	v_dot2_f32_f16 v73, v99, v28, v73
	v_dot2_f32_f16 v69, v100, v25, v69
	v_dot2_f32_f16 v67, v100, v26, v67
	v_dot2_f32_f16 v66, v100, v27, v66
	v_dot2_f32_f16 v65, v100, v28, v65
	s_waitcnt lgkmcnt(2)
	v_dot2_f32_f16 v80, v97, v16, v80
	v_dot2_f32_f16 v79, v97, v17, v79
	v_dot2_f32_f16 v78, v97, v18, v78
	v_dot2_f32_f16 v76, v97, v19, v76
	v_dot2_f32_f16 v72, v98, v16, v72
	v_dot2_f32_f16 v71, v98, v17, v71
	v_dot2_f32_f16 v70, v98, v18, v70
	v_dot2_f32_f16 v68, v98, v19, v68
	v_dot2_f32_f16 v64, v99, v16, v64
	v_dot2_f32_f16 v63, v99, v17, v63
	v_dot2_f32_f16 v62, v99, v18, v62
	v_dot2_f32_f16 v57, v99, v19, v57
	v_dot2_f32_f16 v52, v100, v16, v52
	v_dot2_f32_f16 v51, v100, v17, v51
	v_dot2_f32_f16 v50, v100, v18, v50
	v_dot2_f32_f16 v49, v100, v19, v49
	s_waitcnt lgkmcnt(1)
	v_dot2_f32_f16 v37, v29, v25, v37
	v_dot2_f32_f16 v86, v29, v26, v86
	v_dot2_f32_f16 v87, v29, v27, v87
	v_dot2_f32_f16 v88, v29, v28, v88
	v_dot2_f32_f16 v89, v30, v25, v101
	v_dot2_f32_f16 v90, v30, v26, v102
	v_dot2_f32_f16 v91, v30, v27, v103
	v_dot2_f32_f16 v92, v30, v28, v104
	v_dot2_f32_f16 v53, v31, v25, v53
	v_dot2_f32_f16 v54, v31, v26, v54
	v_dot2_f32_f16 v55, v31, v27, v55
	v_dot2_f32_f16 v56, v31, v28, v56
	v_dot2_f32_f16 v58, v32, v25, v58
	v_dot2_f32_f16 v59, v32, v26, v59
	v_dot2_f32_f16 v60, v32, v27, v60
	v_dot2_f32_f16 v61, v32, v28, v61
	ds_read_b128 v[25:28], v23 offset:17408
	v_dot2_f32_f16 v94, v29, v16, v105
	v_dot2_f32_f16 v95, v29, v17, v106
	;; [unrolled: 1-line block ×16, first 2 shown]
	ds_read_b128 v[16:19], v23 offset:17664
	ds_read_b128 v[29:32], v22 offset:1280
	s_waitcnt lgkmcnt(2)
	v_dot2_f32_f16 v20, v33, v25, v20
	v_dot2_f32_f16 v21, v33, v26, v21
	;; [unrolled: 1-line block ×16, first 2 shown]
	s_waitcnt lgkmcnt(1)
	v_dot2_f32_f16 v80, v33, v16, v80
	v_dot2_f32_f16 v79, v33, v17, v79
	;; [unrolled: 1-line block ×16, first 2 shown]
	ds_read_b128 v[33:36], v22 offset:1536
	s_waitcnt lgkmcnt(1)
	v_dot2_f32_f16 v37, v29, v25, v37
	v_dot2_f32_f16 v86, v29, v26, v86
	v_dot2_f32_f16 v87, v29, v27, v87
	v_dot2_f32_f16 v88, v29, v28, v88
	v_dot2_f32_f16 v89, v30, v25, v89
	v_dot2_f32_f16 v90, v30, v26, v90
	v_dot2_f32_f16 v91, v30, v27, v91
	v_dot2_f32_f16 v92, v30, v28, v92
	v_dot2_f32_f16 v53, v31, v25, v53
	v_dot2_f32_f16 v54, v31, v26, v54
	v_dot2_f32_f16 v55, v31, v27, v55
	v_dot2_f32_f16 v56, v31, v28, v56
	v_dot2_f32_f16 v58, v32, v25, v58
	v_dot2_f32_f16 v59, v32, v26, v59
	v_dot2_f32_f16 v60, v32, v27, v60
	v_dot2_f32_f16 v61, v32, v28, v61
	ds_read_b128 v[25:28], v23 offset:17920
	v_dot2_f32_f16 v94, v29, v16, v94
	v_dot2_f32_f16 v95, v29, v17, v95
	;; [unrolled: 1-line block ×16, first 2 shown]
	ds_read_b128 v[16:19], v23 offset:18176
	ds_read_b128 v[29:32], v22 offset:1792
	s_waitcnt lgkmcnt(2)
	v_dot2_f32_f16 v20, v33, v25, v20
	v_dot2_f32_f16 v21, v33, v26, v21
	;; [unrolled: 1-line block ×16, first 2 shown]
	s_waitcnt lgkmcnt(1)
	v_dot2_f32_f16 v80, v33, v16, v80
	v_dot2_f32_f16 v79, v33, v17, v79
	v_dot2_f32_f16 v78, v33, v18, v78
	v_dot2_f32_f16 v76, v33, v19, v76
	v_dot2_f32_f16 v72, v34, v16, v72
	v_dot2_f32_f16 v71, v34, v17, v71
	v_dot2_f32_f16 v70, v34, v18, v70
	v_dot2_f32_f16 v68, v34, v19, v68
	v_dot2_f32_f16 v64, v35, v16, v64
	v_dot2_f32_f16 v63, v35, v17, v63
	v_dot2_f32_f16 v62, v35, v18, v62
	v_dot2_f32_f16 v57, v35, v19, v57
	v_dot2_f32_f16 v52, v36, v16, v52
	v_dot2_f32_f16 v51, v36, v17, v51
	v_dot2_f32_f16 v50, v36, v18, v50
	v_dot2_f32_f16 v49, v36, v19, v49
	ds_read_b128 v[33:36], v22 offset:2048
	s_waitcnt lgkmcnt(1)
	v_dot2_f32_f16 v37, v29, v25, v37
	v_dot2_f32_f16 v86, v29, v26, v86
	;; [unrolled: 1-line block ×16, first 2 shown]
	ds_read_b128 v[25:28], v23 offset:18432
	v_dot2_f32_f16 v94, v29, v16, v94
	v_dot2_f32_f16 v95, v29, v17, v95
	;; [unrolled: 1-line block ×16, first 2 shown]
	ds_read_b128 v[16:19], v23 offset:18688
	ds_read_b128 v[29:32], v22 offset:2304
	s_waitcnt lgkmcnt(2)
	v_dot2_f32_f16 v20, v33, v25, v20
	v_dot2_f32_f16 v21, v33, v26, v21
	;; [unrolled: 1-line block ×16, first 2 shown]
	s_waitcnt lgkmcnt(1)
	v_dot2_f32_f16 v80, v33, v16, v80
	v_dot2_f32_f16 v79, v33, v17, v79
	v_dot2_f32_f16 v78, v33, v18, v78
	v_dot2_f32_f16 v76, v33, v19, v76
	v_dot2_f32_f16 v72, v34, v16, v72
	v_dot2_f32_f16 v71, v34, v17, v71
	v_dot2_f32_f16 v70, v34, v18, v70
	v_dot2_f32_f16 v68, v34, v19, v68
	v_dot2_f32_f16 v64, v35, v16, v64
	v_dot2_f32_f16 v63, v35, v17, v63
	v_dot2_f32_f16 v62, v35, v18, v62
	v_dot2_f32_f16 v57, v35, v19, v57
	v_dot2_f32_f16 v52, v36, v16, v52
	v_dot2_f32_f16 v51, v36, v17, v51
	v_dot2_f32_f16 v50, v36, v18, v50
	v_dot2_f32_f16 v49, v36, v19, v49
	ds_read_b128 v[33:36], v22 offset:2560
	s_waitcnt lgkmcnt(1)
	v_dot2_f32_f16 v37, v29, v25, v37
	v_dot2_f32_f16 v86, v29, v26, v86
	;; [unrolled: 1-line block ×16, first 2 shown]
	ds_read_b128 v[25:28], v23 offset:18944
	v_dot2_f32_f16 v94, v29, v16, v94
	v_dot2_f32_f16 v95, v29, v17, v95
	;; [unrolled: 1-line block ×16, first 2 shown]
	ds_read_b128 v[16:19], v23 offset:19200
	ds_read_b128 v[29:32], v22 offset:2816
	s_waitcnt lgkmcnt(2)
	v_dot2_f32_f16 v20, v33, v25, v20
	v_dot2_f32_f16 v21, v33, v26, v21
	v_dot2_f32_f16 v24, v33, v27, v24
	v_dot2_f32_f16 v85, v33, v28, v85
	v_dot2_f32_f16 v84, v34, v25, v84
	v_dot2_f32_f16 v83, v34, v26, v83
	v_dot2_f32_f16 v82, v34, v27, v82
	v_dot2_f32_f16 v81, v34, v28, v81
	v_dot2_f32_f16 v77, v35, v25, v77
	v_dot2_f32_f16 v75, v35, v26, v75
	v_dot2_f32_f16 v74, v35, v27, v74
	v_dot2_f32_f16 v73, v35, v28, v73
	v_dot2_f32_f16 v69, v36, v25, v69
	v_dot2_f32_f16 v67, v36, v26, v67
	v_dot2_f32_f16 v66, v36, v27, v66
	v_dot2_f32_f16 v65, v36, v28, v65
	s_waitcnt lgkmcnt(1)
	v_dot2_f32_f16 v80, v33, v16, v80
	v_dot2_f32_f16 v79, v33, v17, v79
	;; [unrolled: 1-line block ×16, first 2 shown]
	ds_read_b128 v[33:36], v22 offset:3072
	s_waitcnt lgkmcnt(1)
	v_dot2_f32_f16 v37, v29, v25, v37
	v_dot2_f32_f16 v86, v29, v26, v86
	;; [unrolled: 1-line block ×16, first 2 shown]
	ds_read_b128 v[25:28], v23 offset:19456
	v_dot2_f32_f16 v94, v29, v16, v94
	v_dot2_f32_f16 v95, v29, v17, v95
	;; [unrolled: 1-line block ×16, first 2 shown]
	ds_read_b128 v[16:19], v23 offset:19712
	ds_read_b128 v[29:32], v22 offset:3328
	s_waitcnt lgkmcnt(2)
	v_dot2_f32_f16 v20, v33, v25, v20
	v_dot2_f32_f16 v21, v33, v26, v21
	;; [unrolled: 1-line block ×16, first 2 shown]
	s_waitcnt lgkmcnt(1)
	v_dot2_f32_f16 v80, v33, v16, v80
	v_dot2_f32_f16 v79, v33, v17, v79
	;; [unrolled: 1-line block ×16, first 2 shown]
	ds_read_b128 v[33:36], v22 offset:3584
	s_waitcnt lgkmcnt(1)
	v_dot2_f32_f16 v37, v29, v25, v37
	v_dot2_f32_f16 v86, v29, v26, v86
	;; [unrolled: 1-line block ×16, first 2 shown]
	ds_read_b128 v[25:28], v23 offset:19968
	v_dot2_f32_f16 v94, v29, v16, v94
	v_dot2_f32_f16 v95, v29, v17, v95
	;; [unrolled: 1-line block ×16, first 2 shown]
	ds_read_b128 v[16:19], v23 offset:20224
	ds_read_b128 v[29:32], v22 offset:3840
	s_waitcnt lgkmcnt(2)
	v_dot2_f32_f16 v20, v33, v25, v20
	v_dot2_f32_f16 v21, v33, v26, v21
	;; [unrolled: 1-line block ×16, first 2 shown]
	s_waitcnt lgkmcnt(1)
	v_dot2_f32_f16 v80, v33, v16, v80
	v_dot2_f32_f16 v79, v33, v17, v79
	;; [unrolled: 1-line block ×16, first 2 shown]
	ds_read_b128 v[33:36], v22 offset:4096
	s_waitcnt lgkmcnt(1)
	v_dot2_f32_f16 v37, v29, v25, v37
	v_dot2_f32_f16 v86, v29, v26, v86
	;; [unrolled: 1-line block ×16, first 2 shown]
	ds_read_b128 v[25:28], v23 offset:20480
	v_dot2_f32_f16 v94, v29, v16, v94
	v_dot2_f32_f16 v95, v29, v17, v95
	;; [unrolled: 1-line block ×16, first 2 shown]
	ds_read_b128 v[16:19], v23 offset:20736
	ds_read_b128 v[29:32], v22 offset:4352
	s_waitcnt lgkmcnt(2)
	v_dot2_f32_f16 v20, v33, v25, v20
	v_dot2_f32_f16 v21, v33, v26, v21
	v_dot2_f32_f16 v24, v33, v27, v24
	v_dot2_f32_f16 v85, v33, v28, v85
	v_dot2_f32_f16 v84, v34, v25, v84
	v_dot2_f32_f16 v83, v34, v26, v83
	v_dot2_f32_f16 v82, v34, v27, v82
	v_dot2_f32_f16 v81, v34, v28, v81
	v_dot2_f32_f16 v77, v35, v25, v77
	v_dot2_f32_f16 v75, v35, v26, v75
	v_dot2_f32_f16 v74, v35, v27, v74
	v_dot2_f32_f16 v73, v35, v28, v73
	v_dot2_f32_f16 v69, v36, v25, v69
	v_dot2_f32_f16 v67, v36, v26, v67
	v_dot2_f32_f16 v66, v36, v27, v66
	v_dot2_f32_f16 v65, v36, v28, v65
	s_waitcnt lgkmcnt(1)
	v_dot2_f32_f16 v80, v33, v16, v80
	v_dot2_f32_f16 v79, v33, v17, v79
	;; [unrolled: 1-line block ×16, first 2 shown]
	ds_read_b128 v[33:36], v22 offset:4608
	s_waitcnt lgkmcnt(1)
	v_dot2_f32_f16 v37, v29, v25, v37
	v_dot2_f32_f16 v86, v29, v26, v86
	;; [unrolled: 1-line block ×16, first 2 shown]
	ds_read_b128 v[25:28], v23 offset:20992
	v_dot2_f32_f16 v94, v29, v16, v94
	v_dot2_f32_f16 v95, v29, v17, v95
	v_dot2_f32_f16 v96, v29, v18, v96
	v_dot2_f32_f16 v93, v29, v19, v93
	v_dot2_f32_f16 v97, v30, v16, v97
	v_dot2_f32_f16 v38, v30, v17, v38
	v_dot2_f32_f16 v39, v30, v18, v39
	v_dot2_f32_f16 v40, v30, v19, v40
	v_dot2_f32_f16 v41, v31, v16, v41
	v_dot2_f32_f16 v42, v31, v17, v42
	v_dot2_f32_f16 v43, v31, v18, v43
	v_dot2_f32_f16 v44, v31, v19, v44
	v_dot2_f32_f16 v45, v32, v16, v45
	v_dot2_f32_f16 v46, v32, v17, v46
	v_dot2_f32_f16 v47, v32, v18, v47
	v_dot2_f32_f16 v48, v32, v19, v48
	ds_read_b128 v[16:19], v23 offset:21248
	ds_read_b128 v[29:32], v22 offset:4864
	s_waitcnt lgkmcnt(2)
	v_dot2_f32_f16 v20, v33, v25, v20
	v_dot2_f32_f16 v21, v33, v26, v21
	;; [unrolled: 1-line block ×16, first 2 shown]
	s_waitcnt lgkmcnt(1)
	v_dot2_f32_f16 v80, v33, v16, v80
	v_dot2_f32_f16 v79, v33, v17, v79
	;; [unrolled: 1-line block ×16, first 2 shown]
	ds_read_b128 v[33:36], v22 offset:5120
	s_waitcnt lgkmcnt(1)
	v_dot2_f32_f16 v37, v29, v25, v37
	v_dot2_f32_f16 v86, v29, v26, v86
	;; [unrolled: 1-line block ×16, first 2 shown]
	ds_read_b128 v[25:28], v23 offset:21504
	v_dot2_f32_f16 v94, v29, v16, v94
	v_dot2_f32_f16 v95, v29, v17, v95
	;; [unrolled: 1-line block ×16, first 2 shown]
	ds_read_b128 v[16:19], v23 offset:21760
	ds_read_b128 v[29:32], v22 offset:5376
	s_waitcnt lgkmcnt(2)
	v_dot2_f32_f16 v20, v33, v25, v20
	v_dot2_f32_f16 v21, v33, v26, v21
	;; [unrolled: 1-line block ×16, first 2 shown]
	s_waitcnt lgkmcnt(1)
	v_dot2_f32_f16 v80, v33, v16, v80
	v_dot2_f32_f16 v79, v33, v17, v79
	;; [unrolled: 1-line block ×16, first 2 shown]
	ds_read_b128 v[33:36], v22 offset:5632
	s_waitcnt lgkmcnt(1)
	v_dot2_f32_f16 v37, v29, v25, v37
	v_dot2_f32_f16 v86, v29, v26, v86
	;; [unrolled: 1-line block ×16, first 2 shown]
	ds_read_b128 v[25:28], v23 offset:22016
	v_dot2_f32_f16 v94, v29, v16, v94
	v_dot2_f32_f16 v95, v29, v17, v95
	;; [unrolled: 1-line block ×16, first 2 shown]
	ds_read_b128 v[16:19], v23 offset:22272
	ds_read_b128 v[29:32], v22 offset:5888
	s_waitcnt lgkmcnt(2)
	v_dot2_f32_f16 v20, v33, v25, v20
	v_dot2_f32_f16 v21, v33, v26, v21
	;; [unrolled: 1-line block ×16, first 2 shown]
	s_waitcnt lgkmcnt(1)
	v_dot2_f32_f16 v80, v33, v16, v80
	v_dot2_f32_f16 v79, v33, v17, v79
	;; [unrolled: 1-line block ×16, first 2 shown]
	ds_read_b128 v[33:36], v22 offset:6144
	s_waitcnt lgkmcnt(1)
	v_dot2_f32_f16 v37, v29, v25, v37
	v_dot2_f32_f16 v86, v29, v26, v86
	;; [unrolled: 1-line block ×16, first 2 shown]
	ds_read_b128 v[25:28], v23 offset:22528
	v_dot2_f32_f16 v94, v29, v16, v94
	v_dot2_f32_f16 v95, v29, v17, v95
	v_dot2_f32_f16 v96, v29, v18, v96
	v_dot2_f32_f16 v93, v29, v19, v93
	v_dot2_f32_f16 v97, v30, v16, v97
	v_dot2_f32_f16 v38, v30, v17, v38
	v_dot2_f32_f16 v39, v30, v18, v39
	v_dot2_f32_f16 v40, v30, v19, v40
	v_dot2_f32_f16 v41, v31, v16, v41
	v_dot2_f32_f16 v42, v31, v17, v42
	v_dot2_f32_f16 v43, v31, v18, v43
	v_dot2_f32_f16 v44, v31, v19, v44
	v_dot2_f32_f16 v45, v32, v16, v45
	v_dot2_f32_f16 v46, v32, v17, v46
	v_dot2_f32_f16 v47, v32, v18, v47
	v_dot2_f32_f16 v48, v32, v19, v48
	ds_read_b128 v[16:19], v23 offset:22784
	ds_read_b128 v[29:32], v22 offset:6400
	s_waitcnt lgkmcnt(2)
	v_dot2_f32_f16 v20, v33, v25, v20
	v_dot2_f32_f16 v21, v33, v26, v21
	;; [unrolled: 1-line block ×16, first 2 shown]
	s_waitcnt lgkmcnt(1)
	v_dot2_f32_f16 v80, v33, v16, v80
	v_dot2_f32_f16 v79, v33, v17, v79
	;; [unrolled: 1-line block ×16, first 2 shown]
	ds_read_b128 v[33:36], v22 offset:6656
	s_waitcnt lgkmcnt(1)
	v_dot2_f32_f16 v37, v29, v25, v37
	v_dot2_f32_f16 v86, v29, v26, v86
	;; [unrolled: 1-line block ×16, first 2 shown]
	ds_read_b128 v[25:28], v23 offset:23040
	v_dot2_f32_f16 v94, v29, v16, v94
	v_dot2_f32_f16 v95, v29, v17, v95
	;; [unrolled: 1-line block ×16, first 2 shown]
	ds_read_b128 v[16:19], v23 offset:23296
	ds_read_b128 v[29:32], v22 offset:6912
	s_waitcnt lgkmcnt(2)
	v_dot2_f32_f16 v20, v33, v25, v20
	v_dot2_f32_f16 v21, v33, v26, v21
	;; [unrolled: 1-line block ×16, first 2 shown]
	s_waitcnt lgkmcnt(1)
	v_dot2_f32_f16 v80, v33, v16, v80
	v_dot2_f32_f16 v79, v33, v17, v79
	;; [unrolled: 1-line block ×16, first 2 shown]
	ds_read_b128 v[33:36], v22 offset:7168
	s_waitcnt lgkmcnt(1)
	v_dot2_f32_f16 v37, v29, v25, v37
	v_dot2_f32_f16 v86, v29, v26, v86
	v_dot2_f32_f16 v87, v29, v27, v87
	v_dot2_f32_f16 v88, v29, v28, v88
	v_dot2_f32_f16 v89, v30, v25, v89
	v_dot2_f32_f16 v90, v30, v26, v90
	v_dot2_f32_f16 v91, v30, v27, v91
	v_dot2_f32_f16 v92, v30, v28, v92
	v_dot2_f32_f16 v53, v31, v25, v53
	v_dot2_f32_f16 v54, v31, v26, v54
	v_dot2_f32_f16 v55, v31, v27, v55
	v_dot2_f32_f16 v56, v31, v28, v56
	v_dot2_f32_f16 v58, v32, v25, v58
	v_dot2_f32_f16 v59, v32, v26, v59
	v_dot2_f32_f16 v60, v32, v27, v60
	v_dot2_f32_f16 v61, v32, v28, v61
	ds_read_b128 v[25:28], v23 offset:23552
	v_dot2_f32_f16 v94, v29, v16, v94
	v_dot2_f32_f16 v95, v29, v17, v95
	v_dot2_f32_f16 v96, v29, v18, v96
	v_dot2_f32_f16 v93, v29, v19, v93
	v_dot2_f32_f16 v97, v30, v16, v97
	v_dot2_f32_f16 v38, v30, v17, v38
	v_dot2_f32_f16 v39, v30, v18, v39
	v_dot2_f32_f16 v40, v30, v19, v40
	v_dot2_f32_f16 v41, v31, v16, v41
	v_dot2_f32_f16 v42, v31, v17, v42
	v_dot2_f32_f16 v43, v31, v18, v43
	v_dot2_f32_f16 v44, v31, v19, v44
	v_dot2_f32_f16 v45, v32, v16, v45
	v_dot2_f32_f16 v46, v32, v17, v46
	v_dot2_f32_f16 v47, v32, v18, v47
	v_dot2_f32_f16 v48, v32, v19, v48
	ds_read_b128 v[16:19], v23 offset:23808
	ds_read_b128 v[29:32], v22 offset:7424
	s_waitcnt lgkmcnt(2)
	v_dot2_f32_f16 v20, v33, v25, v20
	v_dot2_f32_f16 v21, v33, v26, v21
	;; [unrolled: 1-line block ×16, first 2 shown]
	s_waitcnt lgkmcnt(1)
	v_dot2_f32_f16 v80, v33, v16, v80
	v_dot2_f32_f16 v79, v33, v17, v79
	;; [unrolled: 1-line block ×16, first 2 shown]
	ds_read_b128 v[33:36], v22 offset:7680
	s_waitcnt lgkmcnt(1)
	v_dot2_f32_f16 v37, v29, v25, v37
	v_dot2_f32_f16 v86, v29, v26, v86
	;; [unrolled: 1-line block ×16, first 2 shown]
	ds_read_b128 v[25:28], v23 offset:24064
	v_dot2_f32_f16 v94, v29, v16, v94
	v_dot2_f32_f16 v95, v29, v17, v95
	;; [unrolled: 1-line block ×16, first 2 shown]
	ds_read_b128 v[16:19], v23 offset:24320
	ds_read_b128 v[29:32], v22 offset:7936
	s_waitcnt lgkmcnt(2)
	v_dot2_f32_f16 v20, v33, v25, v20
	v_dot2_f32_f16 v21, v33, v26, v21
	v_dot2_f32_f16 v24, v33, v27, v24
	v_dot2_f32_f16 v85, v33, v28, v85
	v_dot2_f32_f16 v84, v34, v25, v84
	v_dot2_f32_f16 v83, v34, v26, v83
	v_dot2_f32_f16 v82, v34, v27, v82
	v_dot2_f32_f16 v81, v34, v28, v81
	v_dot2_f32_f16 v77, v35, v25, v77
	v_dot2_f32_f16 v75, v35, v26, v75
	v_dot2_f32_f16 v74, v35, v27, v74
	v_dot2_f32_f16 v73, v35, v28, v73
	v_dot2_f32_f16 v69, v36, v25, v69
	v_dot2_f32_f16 v67, v36, v26, v67
	v_dot2_f32_f16 v66, v36, v27, v66
	v_dot2_f32_f16 v65, v36, v28, v65
	s_waitcnt lgkmcnt(1)
	v_dot2_f32_f16 v80, v33, v16, v80
	v_dot2_f32_f16 v79, v33, v17, v79
	v_dot2_f32_f16 v78, v33, v18, v78
	v_dot2_f32_f16 v33, v33, v19, v76
	v_dot2_f32_f16 v72, v34, v16, v72
	v_dot2_f32_f16 v71, v34, v17, v71
	v_dot2_f32_f16 v70, v34, v18, v70
	v_dot2_f32_f16 v34, v34, v19, v68
	v_dot2_f32_f16 v64, v35, v16, v64
	v_dot2_f32_f16 v63, v35, v17, v63
	v_dot2_f32_f16 v62, v35, v18, v62
	v_dot2_f32_f16 v35, v35, v19, v57
	v_dot2_f32_f16 v52, v36, v16, v52
	v_dot2_f32_f16 v51, v36, v17, v51
	v_dot2_f32_f16 v50, v36, v18, v50
	v_dot2_f32_f16 v36, v36, v19, v49
	;; [unrolled: 17-line block ×3, first 2 shown]
	buffer_load_dword v43, off, s[44:47], 0 ; 4-byte Folded Reload
	s_waitcnt vmcnt(0)
	ds_write_b128 v43, v[0:3] offset:8192
	ds_write_b128 v43, v[8:11] offset:8704
	;; [unrolled: 1-line block ×4, first 2 shown]
	s_waitcnt lgkmcnt(0)
	s_barrier
	ds_read_b128 v[0:3], v22 offset:8192
	ds_read_b128 v[4:7], v23 offset:24576
	;; [unrolled: 1-line block ×4, first 2 shown]
	v_dot2_f32_f16 v37, v29, v25, v37
	v_dot2_f32_f16 v53, v31, v25, v53
	;; [unrolled: 1-line block ×16, first 2 shown]
	s_waitcnt lgkmcnt(2)
	v_dot2_f32_f16 v20, v0, v4, v20
	v_dot2_f32_f16 v21, v0, v5, v21
	;; [unrolled: 1-line block ×16, first 2 shown]
	s_waitcnt lgkmcnt(1)
	v_dot2_f32_f16 v75, v0, v8, v80
	v_dot2_f32_f16 v77, v0, v9, v79
	;; [unrolled: 1-line block ×16, first 2 shown]
	ds_read_b128 v[0:3], v22 offset:8704
	s_waitcnt lgkmcnt(1)
	v_dot2_f32_f16 v37, v12, v4, v37
	v_dot2_f32_f16 v49, v12, v5, v49
	;; [unrolled: 1-line block ×16, first 2 shown]
	ds_read_b128 v[4:7], v23 offset:25088
	v_dot2_f32_f16 v58, v12, v8, v58
	v_dot2_f32_f16 v59, v12, v9, v59
	;; [unrolled: 1-line block ×16, first 2 shown]
	ds_read_b128 v[8:11], v23 offset:25344
	ds_read_b128 v[12:15], v22 offset:8960
	s_waitcnt lgkmcnt(2)
	v_dot2_f32_f16 v20, v0, v4, v20
	v_dot2_f32_f16 v21, v0, v5, v21
	;; [unrolled: 1-line block ×16, first 2 shown]
	s_waitcnt lgkmcnt(1)
	v_dot2_f32_f16 v75, v0, v8, v75
	v_dot2_f32_f16 v77, v0, v9, v77
	;; [unrolled: 1-line block ×16, first 2 shown]
	ds_read_b128 v[0:3], v22 offset:9216
	s_waitcnt lgkmcnt(1)
	v_dot2_f32_f16 v37, v12, v4, v37
	v_dot2_f32_f16 v49, v12, v5, v49
	;; [unrolled: 1-line block ×16, first 2 shown]
	ds_read_b128 v[4:7], v23 offset:25600
	v_dot2_f32_f16 v58, v12, v8, v58
	v_dot2_f32_f16 v59, v12, v9, v59
	;; [unrolled: 1-line block ×16, first 2 shown]
	ds_read_b128 v[8:11], v23 offset:25856
	ds_read_b128 v[12:15], v22 offset:9472
	s_waitcnt lgkmcnt(2)
	v_dot2_f32_f16 v20, v0, v4, v20
	v_dot2_f32_f16 v21, v0, v5, v21
	;; [unrolled: 1-line block ×16, first 2 shown]
	s_waitcnt lgkmcnt(1)
	v_dot2_f32_f16 v75, v0, v8, v75
	v_dot2_f32_f16 v77, v0, v9, v77
	;; [unrolled: 1-line block ×16, first 2 shown]
	ds_read_b128 v[0:3], v22 offset:9728
	s_waitcnt lgkmcnt(1)
	v_dot2_f32_f16 v37, v12, v4, v37
	v_dot2_f32_f16 v49, v12, v5, v49
	;; [unrolled: 1-line block ×16, first 2 shown]
	ds_read_b128 v[4:7], v23 offset:26112
	v_dot2_f32_f16 v58, v12, v8, v58
	v_dot2_f32_f16 v59, v12, v9, v59
	;; [unrolled: 1-line block ×16, first 2 shown]
	ds_read_b128 v[8:11], v23 offset:26368
	ds_read_b128 v[12:15], v22 offset:9984
	s_waitcnt lgkmcnt(2)
	v_dot2_f32_f16 v20, v0, v4, v20
	v_dot2_f32_f16 v21, v0, v5, v21
	;; [unrolled: 1-line block ×16, first 2 shown]
	s_waitcnt lgkmcnt(1)
	v_dot2_f32_f16 v75, v0, v8, v75
	v_dot2_f32_f16 v77, v0, v9, v77
	;; [unrolled: 1-line block ×16, first 2 shown]
	ds_read_b128 v[0:3], v22 offset:10240
	s_waitcnt lgkmcnt(1)
	v_dot2_f32_f16 v37, v12, v4, v37
	v_dot2_f32_f16 v49, v12, v5, v49
	;; [unrolled: 1-line block ×16, first 2 shown]
	ds_read_b128 v[4:7], v23 offset:26624
	v_dot2_f32_f16 v58, v12, v8, v58
	v_dot2_f32_f16 v59, v12, v9, v59
	v_dot2_f32_f16 v60, v12, v10, v60
	v_dot2_f32_f16 v29, v12, v11, v29
	v_dot2_f32_f16 v61, v13, v8, v61
	v_dot2_f32_f16 v38, v13, v9, v38
	v_dot2_f32_f16 v39, v13, v10, v39
	v_dot2_f32_f16 v30, v13, v11, v30
	v_dot2_f32_f16 v40, v14, v8, v40
	v_dot2_f32_f16 v41, v14, v9, v41
	v_dot2_f32_f16 v42, v14, v10, v42
	v_dot2_f32_f16 v31, v14, v11, v31
	v_dot2_f32_f16 v16, v15, v8, v16
	v_dot2_f32_f16 v17, v15, v9, v17
	v_dot2_f32_f16 v18, v15, v10, v18
	v_dot2_f32_f16 v19, v15, v11, v19
	ds_read_b128 v[8:11], v23 offset:26880
	ds_read_b128 v[12:15], v22 offset:10496
	s_waitcnt lgkmcnt(2)
	v_dot2_f32_f16 v20, v0, v4, v20
	v_dot2_f32_f16 v21, v0, v5, v21
	;; [unrolled: 1-line block ×16, first 2 shown]
	s_waitcnt lgkmcnt(1)
	v_dot2_f32_f16 v75, v0, v8, v75
	v_dot2_f32_f16 v77, v0, v9, v77
	;; [unrolled: 1-line block ×16, first 2 shown]
	ds_read_b128 v[0:3], v22 offset:10752
	s_waitcnt lgkmcnt(1)
	v_dot2_f32_f16 v37, v12, v4, v37
	v_dot2_f32_f16 v49, v12, v5, v49
	v_dot2_f32_f16 v57, v12, v6, v57
	v_dot2_f32_f16 v68, v12, v7, v68
	v_dot2_f32_f16 v76, v13, v4, v76
	v_dot2_f32_f16 v79, v13, v5, v79
	v_dot2_f32_f16 v80, v13, v6, v80
	v_dot2_f32_f16 v81, v13, v7, v81
	v_dot2_f32_f16 v53, v14, v4, v53
	v_dot2_f32_f16 v54, v14, v5, v54
	v_dot2_f32_f16 v55, v14, v6, v55
	v_dot2_f32_f16 v56, v14, v7, v56
	v_dot2_f32_f16 v25, v15, v4, v25
	v_dot2_f32_f16 v26, v15, v5, v26
	v_dot2_f32_f16 v27, v15, v6, v27
	v_dot2_f32_f16 v28, v15, v7, v28
	ds_read_b128 v[4:7], v23 offset:27136
	v_dot2_f32_f16 v58, v12, v8, v58
	v_dot2_f32_f16 v59, v12, v9, v59
	;; [unrolled: 1-line block ×16, first 2 shown]
	ds_read_b128 v[8:11], v23 offset:27392
	ds_read_b128 v[12:15], v22 offset:11008
	s_waitcnt lgkmcnt(2)
	v_dot2_f32_f16 v20, v0, v4, v20
	v_dot2_f32_f16 v21, v0, v5, v21
	;; [unrolled: 1-line block ×16, first 2 shown]
	s_waitcnt lgkmcnt(1)
	v_dot2_f32_f16 v75, v0, v8, v75
	v_dot2_f32_f16 v77, v0, v9, v77
	;; [unrolled: 1-line block ×16, first 2 shown]
	ds_read_b128 v[0:3], v22 offset:11264
	s_waitcnt lgkmcnt(1)
	v_dot2_f32_f16 v37, v12, v4, v37
	v_dot2_f32_f16 v49, v12, v5, v49
	;; [unrolled: 1-line block ×16, first 2 shown]
	ds_read_b128 v[4:7], v23 offset:27648
	v_dot2_f32_f16 v58, v12, v8, v58
	v_dot2_f32_f16 v59, v12, v9, v59
	;; [unrolled: 1-line block ×16, first 2 shown]
	ds_read_b128 v[8:11], v23 offset:27904
	ds_read_b128 v[12:15], v22 offset:11520
	s_waitcnt lgkmcnt(2)
	v_dot2_f32_f16 v20, v0, v4, v20
	v_dot2_f32_f16 v21, v0, v5, v21
	;; [unrolled: 1-line block ×16, first 2 shown]
	s_waitcnt lgkmcnt(1)
	v_dot2_f32_f16 v75, v0, v8, v75
	v_dot2_f32_f16 v77, v0, v9, v77
	;; [unrolled: 1-line block ×16, first 2 shown]
	ds_read_b128 v[0:3], v22 offset:11776
	s_waitcnt lgkmcnt(1)
	v_dot2_f32_f16 v37, v12, v4, v37
	v_dot2_f32_f16 v49, v12, v5, v49
	;; [unrolled: 1-line block ×16, first 2 shown]
	ds_read_b128 v[4:7], v23 offset:28160
	v_dot2_f32_f16 v58, v12, v8, v58
	v_dot2_f32_f16 v59, v12, v9, v59
	;; [unrolled: 1-line block ×16, first 2 shown]
	ds_read_b128 v[8:11], v23 offset:28416
	ds_read_b128 v[12:15], v22 offset:12032
	s_waitcnt lgkmcnt(2)
	v_dot2_f32_f16 v20, v0, v4, v20
	v_dot2_f32_f16 v21, v0, v5, v21
	;; [unrolled: 1-line block ×16, first 2 shown]
	s_waitcnt lgkmcnt(1)
	v_dot2_f32_f16 v75, v0, v8, v75
	v_dot2_f32_f16 v77, v0, v9, v77
	v_dot2_f32_f16 v78, v0, v10, v78
	v_dot2_f32_f16 v33, v0, v11, v33
	v_dot2_f32_f16 v72, v1, v8, v72
	v_dot2_f32_f16 v71, v1, v9, v71
	v_dot2_f32_f16 v70, v1, v10, v70
	v_dot2_f32_f16 v34, v1, v11, v34
	v_dot2_f32_f16 v64, v2, v8, v64
	v_dot2_f32_f16 v63, v2, v9, v63
	v_dot2_f32_f16 v62, v2, v10, v62
	v_dot2_f32_f16 v35, v2, v11, v35
	v_dot2_f32_f16 v52, v3, v8, v52
	v_dot2_f32_f16 v51, v3, v9, v51
	v_dot2_f32_f16 v50, v3, v10, v50
	v_dot2_f32_f16 v36, v3, v11, v36
	ds_read_b128 v[0:3], v22 offset:12288
	s_waitcnt lgkmcnt(1)
	v_dot2_f32_f16 v37, v12, v4, v37
	v_dot2_f32_f16 v49, v12, v5, v49
	;; [unrolled: 1-line block ×16, first 2 shown]
	ds_read_b128 v[4:7], v23 offset:28672
	v_dot2_f32_f16 v58, v12, v8, v58
	v_dot2_f32_f16 v59, v12, v9, v59
	;; [unrolled: 1-line block ×16, first 2 shown]
	ds_read_b128 v[8:11], v23 offset:28928
	ds_read_b128 v[12:15], v22 offset:12544
	s_waitcnt lgkmcnt(2)
	v_dot2_f32_f16 v20, v0, v4, v20
	v_dot2_f32_f16 v21, v0, v5, v21
	;; [unrolled: 1-line block ×16, first 2 shown]
	s_waitcnt lgkmcnt(1)
	v_dot2_f32_f16 v75, v0, v8, v75
	v_dot2_f32_f16 v77, v0, v9, v77
	;; [unrolled: 1-line block ×16, first 2 shown]
	ds_read_b128 v[0:3], v22 offset:12800
	s_waitcnt lgkmcnt(1)
	v_dot2_f32_f16 v37, v12, v4, v37
	v_dot2_f32_f16 v49, v12, v5, v49
	;; [unrolled: 1-line block ×16, first 2 shown]
	ds_read_b128 v[4:7], v23 offset:29184
	v_dot2_f32_f16 v58, v12, v8, v58
	v_dot2_f32_f16 v59, v12, v9, v59
	;; [unrolled: 1-line block ×16, first 2 shown]
	ds_read_b128 v[8:11], v23 offset:29440
	ds_read_b128 v[12:15], v22 offset:13056
	s_waitcnt lgkmcnt(2)
	v_dot2_f32_f16 v20, v0, v4, v20
	v_dot2_f32_f16 v21, v0, v5, v21
	;; [unrolled: 1-line block ×16, first 2 shown]
	s_waitcnt lgkmcnt(1)
	v_dot2_f32_f16 v75, v0, v8, v75
	v_dot2_f32_f16 v77, v0, v9, v77
	;; [unrolled: 1-line block ×16, first 2 shown]
	ds_read_b128 v[0:3], v22 offset:13312
	s_waitcnt lgkmcnt(1)
	v_dot2_f32_f16 v37, v12, v4, v37
	v_dot2_f32_f16 v49, v12, v5, v49
	;; [unrolled: 1-line block ×16, first 2 shown]
	ds_read_b128 v[4:7], v23 offset:29696
	v_dot2_f32_f16 v58, v12, v8, v58
	v_dot2_f32_f16 v59, v12, v9, v59
	;; [unrolled: 1-line block ×16, first 2 shown]
	ds_read_b128 v[8:11], v23 offset:29952
	ds_read_b128 v[12:15], v22 offset:13568
	s_waitcnt lgkmcnt(2)
	v_dot2_f32_f16 v20, v0, v4, v20
	v_dot2_f32_f16 v21, v0, v5, v21
	;; [unrolled: 1-line block ×16, first 2 shown]
	s_waitcnt lgkmcnt(1)
	v_dot2_f32_f16 v75, v0, v8, v75
	v_dot2_f32_f16 v77, v0, v9, v77
	v_dot2_f32_f16 v78, v0, v10, v78
	v_dot2_f32_f16 v33, v0, v11, v33
	v_dot2_f32_f16 v72, v1, v8, v72
	v_dot2_f32_f16 v71, v1, v9, v71
	v_dot2_f32_f16 v70, v1, v10, v70
	v_dot2_f32_f16 v34, v1, v11, v34
	v_dot2_f32_f16 v64, v2, v8, v64
	v_dot2_f32_f16 v63, v2, v9, v63
	v_dot2_f32_f16 v62, v2, v10, v62
	v_dot2_f32_f16 v35, v2, v11, v35
	v_dot2_f32_f16 v52, v3, v8, v52
	v_dot2_f32_f16 v51, v3, v9, v51
	v_dot2_f32_f16 v50, v3, v10, v50
	v_dot2_f32_f16 v36, v3, v11, v36
	ds_read_b128 v[0:3], v22 offset:13824
	s_waitcnt lgkmcnt(1)
	v_dot2_f32_f16 v37, v12, v4, v37
	v_dot2_f32_f16 v49, v12, v5, v49
	;; [unrolled: 1-line block ×16, first 2 shown]
	ds_read_b128 v[4:7], v23 offset:30208
	v_dot2_f32_f16 v58, v12, v8, v58
	v_dot2_f32_f16 v59, v12, v9, v59
	;; [unrolled: 1-line block ×16, first 2 shown]
	ds_read_b128 v[8:11], v23 offset:30464
	ds_read_b128 v[12:15], v22 offset:14080
	s_waitcnt lgkmcnt(2)
	v_dot2_f32_f16 v20, v0, v4, v20
	v_dot2_f32_f16 v21, v0, v5, v21
	;; [unrolled: 1-line block ×16, first 2 shown]
	s_waitcnt lgkmcnt(1)
	v_dot2_f32_f16 v75, v0, v8, v75
	v_dot2_f32_f16 v77, v0, v9, v77
	;; [unrolled: 1-line block ×16, first 2 shown]
	ds_read_b128 v[0:3], v22 offset:14336
	s_waitcnt lgkmcnt(1)
	v_dot2_f32_f16 v37, v12, v4, v37
	v_dot2_f32_f16 v49, v12, v5, v49
	;; [unrolled: 1-line block ×16, first 2 shown]
	ds_read_b128 v[4:7], v23 offset:30720
	v_dot2_f32_f16 v58, v12, v8, v58
	v_dot2_f32_f16 v59, v12, v9, v59
	;; [unrolled: 1-line block ×16, first 2 shown]
	ds_read_b128 v[8:11], v23 offset:30976
	ds_read_b128 v[12:15], v22 offset:14592
	s_waitcnt lgkmcnt(2)
	v_dot2_f32_f16 v20, v0, v4, v20
	v_dot2_f32_f16 v21, v0, v5, v21
	;; [unrolled: 1-line block ×16, first 2 shown]
	s_waitcnt lgkmcnt(1)
	v_dot2_f32_f16 v75, v0, v8, v75
	v_dot2_f32_f16 v77, v0, v9, v77
	;; [unrolled: 1-line block ×16, first 2 shown]
	ds_read_b128 v[0:3], v22 offset:14848
	s_waitcnt lgkmcnt(1)
	v_dot2_f32_f16 v37, v12, v4, v37
	v_dot2_f32_f16 v49, v12, v5, v49
	;; [unrolled: 1-line block ×16, first 2 shown]
	ds_read_b128 v[4:7], v23 offset:31232
	v_dot2_f32_f16 v58, v12, v8, v58
	v_dot2_f32_f16 v59, v12, v9, v59
	v_dot2_f32_f16 v60, v12, v10, v60
	v_dot2_f32_f16 v29, v12, v11, v29
	v_dot2_f32_f16 v61, v13, v8, v61
	v_dot2_f32_f16 v38, v13, v9, v38
	v_dot2_f32_f16 v39, v13, v10, v39
	v_dot2_f32_f16 v30, v13, v11, v30
	v_dot2_f32_f16 v40, v14, v8, v40
	v_dot2_f32_f16 v41, v14, v9, v41
	v_dot2_f32_f16 v42, v14, v10, v42
	v_dot2_f32_f16 v31, v14, v11, v31
	v_dot2_f32_f16 v16, v15, v8, v16
	v_dot2_f32_f16 v17, v15, v9, v17
	v_dot2_f32_f16 v18, v15, v10, v18
	v_dot2_f32_f16 v19, v15, v11, v19
	ds_read_b128 v[8:11], v23 offset:31488
	ds_read_b128 v[12:15], v22 offset:15104
	s_waitcnt lgkmcnt(2)
	v_dot2_f32_f16 v20, v0, v4, v20
	v_dot2_f32_f16 v21, v0, v5, v21
	;; [unrolled: 1-line block ×16, first 2 shown]
	s_waitcnt lgkmcnt(1)
	v_dot2_f32_f16 v75, v0, v8, v75
	v_dot2_f32_f16 v77, v0, v9, v77
	;; [unrolled: 1-line block ×16, first 2 shown]
	ds_read_b128 v[0:3], v22 offset:15360
	s_waitcnt lgkmcnt(1)
	v_dot2_f32_f16 v37, v12, v4, v37
	v_dot2_f32_f16 v49, v12, v5, v49
	;; [unrolled: 1-line block ×16, first 2 shown]
	ds_read_b128 v[4:7], v23 offset:31744
	v_dot2_f32_f16 v58, v12, v8, v58
	v_dot2_f32_f16 v59, v12, v9, v59
	;; [unrolled: 1-line block ×16, first 2 shown]
	ds_read_b128 v[8:11], v23 offset:32000
	ds_read_b128 v[12:15], v22 offset:15616
	s_waitcnt lgkmcnt(2)
	v_dot2_f32_f16 v20, v0, v4, v20
	v_dot2_f32_f16 v21, v0, v5, v21
	;; [unrolled: 1-line block ×16, first 2 shown]
	s_waitcnt lgkmcnt(1)
	v_dot2_f32_f16 v75, v0, v8, v75
	v_dot2_f32_f16 v77, v0, v9, v77
	;; [unrolled: 1-line block ×16, first 2 shown]
	ds_read_b128 v[0:3], v22 offset:15872
	s_waitcnt lgkmcnt(1)
	v_dot2_f32_f16 v37, v12, v4, v37
	v_dot2_f32_f16 v49, v12, v5, v49
	;; [unrolled: 1-line block ×16, first 2 shown]
	ds_read_b128 v[4:7], v23 offset:32256
	v_dot2_f32_f16 v58, v12, v8, v58
	v_dot2_f32_f16 v59, v12, v9, v59
	;; [unrolled: 1-line block ×16, first 2 shown]
	ds_read_b128 v[8:11], v23 offset:32512
	ds_read_b128 v[12:15], v22 offset:16128
	s_waitcnt lgkmcnt(2)
	v_dot2_f32_f16 v20, v0, v4, v20
	v_dot2_f32_f16 v21, v0, v5, v21
	;; [unrolled: 1-line block ×12, first 2 shown]
	s_waitcnt lgkmcnt(1)
	v_dot2_f32_f16 v73, v0, v8, v75
	v_dot2_f32_f16 v74, v0, v9, v77
	;; [unrolled: 1-line block ×4, first 2 shown]
	buffer_load_dword v0, off, s[44:47], 0 offset:56 ; 4-byte Folded Reload
	v_dot2_f32_f16 v69, v3, v4, v69
	v_dot2_f32_f16 v67, v3, v5, v67
	v_dot2_f32_f16 v66, v3, v6, v66
	v_dot2_f32_f16 v65, v3, v7, v65
	v_dot2_f32_f16 v72, v1, v8, v72
	v_dot2_f32_f16 v71, v1, v9, v71
	v_dot2_f32_f16 v70, v1, v10, v70
	v_dot2_f32_f16 v34, v1, v11, v34
	v_dot2_f32_f16 v64, v2, v8, v64
	v_dot2_f32_f16 v63, v2, v9, v63
	v_dot2_f32_f16 v62, v2, v10, v62
	v_dot2_f32_f16 v2, v2, v11, v35
	v_dot2_f32_f16 v35, v3, v8, v52
	v_dot2_f32_f16 v51, v3, v9, v51
	v_dot2_f32_f16 v50, v3, v10, v50
	v_dot2_f32_f16 v3, v3, v11, v36
	s_waitcnt lgkmcnt(0)
	v_dot2_f32_f16 v36, v12, v4, v37
	v_dot2_f32_f16 v37, v12, v5, v49
	;; [unrolled: 1-line block ×32, first 2 shown]
	buffer_load_dword v15, off, s[44:47], 0 offset:52 ; 4-byte Folded Reload
	v_cvt_f16_f32_e32 v16, v20
	v_cvt_f16_f32_e32 v1, v22
	;; [unrolled: 1-line block ×6, first 2 shown]
	v_pack_b32_f16 v1, v1, v17
	v_cvt_f16_f32_e32 v17, v73
	v_cvt_f16_f32_e32 v2, v2
	;; [unrolled: 1-line block ×7, first 2 shown]
	s_waitcnt vmcnt(1)
	v_add_u32_e32 v0, s17, v0
	v_mul_lo_u32 v0, v0, s16
	s_waitcnt vmcnt(0)
	v_add3_u32 v15, s3, v15, v0
	v_pack_b32_f16 v0, v16, v18
	v_cvt_f16_f32_e32 v18, v75
	s_mov_b32 s3, 0x20000
	v_lshlrev_b32_e32 v16, 1, v15
	buffer_store_dwordx2 v[0:1], v16, s[0:3], 0 offen
	v_pack_b32_f16 v1, v18, v19
	v_pack_b32_f16 v0, v17, v20
	v_cvt_f16_f32_e32 v17, v72
	v_cvt_f16_f32_e32 v18, v70
	;; [unrolled: 1-line block ×4, first 2 shown]
	v_add_u32_e32 v16, 64, v15
	v_lshlrev_b32_e32 v21, 1, v16
	buffer_store_dwordx2 v[0:1], v21, s[0:3], 0 offen
	v_pack_b32_f16 v1, v18, v19
	v_pack_b32_f16 v0, v17, v20
	v_cvt_f16_f32_e32 v17, v24
	v_cvt_f16_f32_e32 v18, v43
	;; [unrolled: 1-line block ×4, first 2 shown]
	v_add_lshl_u32 v16, v16, s16, 1
	buffer_store_dwordx2 v[0:1], v16, s[0:3], 0 offen
	v_pack_b32_f16 v1, v18, v19
	v_pack_b32_f16 v0, v17, v20
	v_cvt_f16_f32_e32 v17, v45
	v_cvt_f16_f32_e32 v18, v47
	;; [unrolled: 1-line block ×4, first 2 shown]
	v_add_u32_e32 v15, s16, v15
	v_lshlrev_b32_e32 v16, 1, v15
	buffer_store_dwordx2 v[0:1], v16, s[0:3], 0 offen
	v_pack_b32_f16 v1, v18, v19
	v_pack_b32_f16 v0, v17, v20
	v_cvt_f16_f32_e32 v17, v64
	v_cvt_f16_f32_e32 v18, v62
	;; [unrolled: 1-line block ×3, first 2 shown]
	v_add_u32_e32 v15, s16, v15
	v_lshlrev_b32_e32 v16, 1, v15
	buffer_store_dwordx2 v[0:1], v16, s[0:3], 0 offen
	v_pack_b32_f16 v1, v18, v2
	v_pack_b32_f16 v0, v17, v19
	v_cvt_f16_f32_e32 v2, v35
	v_cvt_f16_f32_e32 v17, v50
	;; [unrolled: 1-line block ×3, first 2 shown]
	v_add_u32_e32 v16, 64, v15
	v_lshlrev_b32_e32 v19, 1, v16
	buffer_store_dwordx2 v[0:1], v19, s[0:3], 0 offen
	v_pack_b32_f16 v1, v17, v3
	v_pack_b32_f16 v0, v2, v18
	v_add_lshl_u32 v2, v16, s16, 1
	v_cvt_f16_f32_e32 v3, v69
	v_cvt_f16_f32_e32 v16, v66
	;; [unrolled: 1-line block ×4, first 2 shown]
	buffer_store_dwordx2 v[0:1], v2, s[0:3], 0 offen
	v_add_u32_e32 v2, s16, v15
	v_pack_b32_f16 v1, v16, v17
	v_pack_b32_f16 v0, v3, v18
	v_lshlrev_b32_e32 v3, 1, v2
	buffer_store_dwordx2 v[0:1], v3, s[0:3], 0 offen
	v_pack_b32_f16 v1, v6, v7
	v_pack_b32_f16 v0, v4, v5
	v_cvt_f16_f32_e32 v4, v8
	v_cvt_f16_f32_e32 v5, v10
	;; [unrolled: 1-line block ×4, first 2 shown]
	v_lshl_add_u32 v2, s16, 6, v2
	v_lshlrev_b32_e32 v3, 1, v2
	buffer_store_dwordx2 v[0:1], v3, s[0:3], 0 offen
	v_pack_b32_f16 v1, v5, v6
	v_pack_b32_f16 v0, v4, v7
	v_cvt_f16_f32_e32 v4, v30
	v_cvt_f16_f32_e32 v5, v40
	v_cvt_f16_f32_e32 v6, v14
	v_cvt_f16_f32_e32 v7, v39
	v_add_u32_e32 v2, 64, v2
	v_lshlrev_b32_e32 v3, 1, v2
	buffer_store_dwordx2 v[0:1], v3, s[0:3], 0 offen
	v_pack_b32_f16 v1, v5, v6
	v_pack_b32_f16 v0, v4, v7
	v_cvt_f16_f32_e32 v4, v53
	v_cvt_f16_f32_e32 v5, v55
	v_cvt_f16_f32_e32 v6, v56
	v_cvt_f16_f32_e32 v7, v54
	v_subrev_u32_e32 v2, s16, v2
	v_lshlrev_b32_e32 v3, 1, v2
	buffer_store_dwordx2 v[0:1], v3, s[0:3], 0 offen
	v_pack_b32_f16 v1, v5, v6
	v_pack_b32_f16 v0, v4, v7
	v_cvt_f16_f32_e32 v4, v57
	v_cvt_f16_f32_e32 v5, v76
	v_cvt_f16_f32_e32 v6, v77
	v_cvt_f16_f32_e32 v7, v68
	v_subrev_u32_e32 v2, 64, v2
	;; [unrolled: 9-line block ×3, first 2 shown]
	v_lshlrev_b32_e32 v3, 1, v2
	buffer_store_dwordx2 v[0:1], v3, s[0:3], 0 offen
	v_pack_b32_f16 v1, v5, v6
	v_pack_b32_f16 v0, v4, v7
	v_cvt_f16_f32_e32 v4, v25
	v_cvt_f16_f32_e32 v5, v27
	;; [unrolled: 1-line block ×4, first 2 shown]
	v_add_u32_e32 v2, 64, v2
	v_lshlrev_b32_e32 v3, 1, v2
	buffer_store_dwordx2 v[0:1], v3, s[0:3], 0 offen
	v_pack_b32_f16 v1, v5, v6
	v_pack_b32_f16 v0, v4, v7
	v_cvt_f16_f32_e32 v3, v36
	v_cvt_f16_f32_e32 v4, v49
	;; [unrolled: 1-line block ×4, first 2 shown]
	v_subrev_u32_e32 v2, s16, v2
	v_lshlrev_b32_e32 v2, 1, v2
	buffer_store_dwordx2 v[0:1], v2, s[0:3], 0 offen
	v_pack_b32_f16 v1, v4, v5
	v_pack_b32_f16 v0, v3, v6
	v_add_u32_e32 v2, 0xffffff80, v2
	buffer_store_dwordx2 v[0:1], v2, s[0:3], 0 offen
	s_endpgm
	.section	.rodata,"a",@progbits
	.p2align	6, 0x0
	.amdhsa_kernel _ZN2ck19kernel_gemm_dl_v1r3INS_28GridwiseGemmDl_km_kn_mn_v1r3ILi256EDF16_fDF16_LNS_25InMemoryDataOperationEnumE0ENS_16TensorDescriptorINS_5TupleIJNS_5EmbedINS4_IJiiEEENS4_IJNS_17integral_constantIiLi1EEEiEEELb0EEENS_7UnMergeINS4_IJiNS7_IiLi2EEEEEELb0EEENS_11PassThroughIiEEEEENS4_IJNS_8SequenceIJLi0EEEENSI_IJLi2EEEENSI_IJLi1EEEEEEENS4_IJNSI_IJLi1ELi2EEEENSI_IJLi3ELi4EEEENSI_IJLi5EEEEEEENSI_IJLi3ELi5ELi4EEEElEENS3_INS4_IJNS5_IS6_NS4_IJiS8_EEELb0EEESE_SG_EEENS4_IJSJ_SL_SK_EEESQ_SR_lEENS3_INS4_IJSU_SG_SG_EEESW_NS4_IJSN_NSI_IJLi3EEEENSI_IJLi4EEEEEEESO_lEELi128ELi128ELi16ELi2ELi4ELi4ELi1ENSI_IJLi8ELi2EEEES13_NSI_IJLi2ELi1ELi4ELi2EEEENSI_IJLi8ELi1ELi32ELi1EEEENSI_IJLi0ELi3ELi1ELi2EEEES16_NSI_IJLi1ELi1ELi4ELi1EEEES16_NSI_IJLi1ELi1ELi4ELi2EEEES14_S15_S16_S16_S17_S16_S18_NSI_IJLi0ELi1ELi2ELi3ELi4ELi5EEEELi5ELi4EEEDF16_DF16_NS3_INS4_IJSA_SE_SG_SG_NSB_INS4_IJiNS7_IiLi128EEEEEELb0EEENSF_ISC_EEEEENS4_IJSJ_SK_SL_SZ_SP_S10_EEENS4_IJSN_SO_SP_NSI_IJLi6EEEENSI_IJLi7ELi8EEEENSI_IJLi9EEEEEEENSI_IJLi6ELi7ELi8ELi9EEEElEENS3_INS4_IJSU_SE_SG_SG_S1D_S1E_EEENS4_IJSJ_SL_SK_SZ_SP_S10_EEES1K_S1L_lEENS3_INS4_IJSU_SG_SG_NSB_INS4_IJiSC_NS7_IiLi64EEEEEELb0EEES1S_EEENS4_IJSJ_SL_SK_SZ_S10_EEENS4_IJSN_SZ_S10_NSI_IJLi5ELi6ELi7EEEENSI_IJLi8ELi9ELi10EEEEEEENSI_IJLi5ELi6ELi7ELi8ELi9ELi10EEEElEENS_31BlockToCTileMap_M00_N00_M01_N01ILi128ELi128ES12_Lb0EEELb1ELb1EEEvPKT0_S24_PT1_T2_T3_T4_T5_
		.amdhsa_group_segment_fixed_size 32768
		.amdhsa_private_segment_fixed_size 64
		.amdhsa_kernarg_size 328
		.amdhsa_user_sgpr_count 6
		.amdhsa_user_sgpr_private_segment_buffer 1
		.amdhsa_user_sgpr_dispatch_ptr 0
		.amdhsa_user_sgpr_queue_ptr 0
		.amdhsa_user_sgpr_kernarg_segment_ptr 1
		.amdhsa_user_sgpr_dispatch_id 0
		.amdhsa_user_sgpr_flat_scratch_init 0
		.amdhsa_user_sgpr_private_segment_size 0
		.amdhsa_uses_dynamic_stack 0
		.amdhsa_system_sgpr_private_segment_wavefront_offset 1
		.amdhsa_system_sgpr_workgroup_id_x 1
		.amdhsa_system_sgpr_workgroup_id_y 0
		.amdhsa_system_sgpr_workgroup_id_z 0
		.amdhsa_system_sgpr_workgroup_info 0
		.amdhsa_system_vgpr_workitem_id 0
		.amdhsa_next_free_vgpr 128
		.amdhsa_next_free_sgpr 98
		.amdhsa_reserve_vcc 0
		.amdhsa_reserve_flat_scratch 0
		.amdhsa_float_round_mode_32 0
		.amdhsa_float_round_mode_16_64 0
		.amdhsa_float_denorm_mode_32 3
		.amdhsa_float_denorm_mode_16_64 3
		.amdhsa_dx10_clamp 1
		.amdhsa_ieee_mode 1
		.amdhsa_fp16_overflow 0
		.amdhsa_exception_fp_ieee_invalid_op 0
		.amdhsa_exception_fp_denorm_src 0
		.amdhsa_exception_fp_ieee_div_zero 0
		.amdhsa_exception_fp_ieee_overflow 0
		.amdhsa_exception_fp_ieee_underflow 0
		.amdhsa_exception_fp_ieee_inexact 0
		.amdhsa_exception_int_div_zero 0
	.end_amdhsa_kernel
	.section	.text._ZN2ck19kernel_gemm_dl_v1r3INS_28GridwiseGemmDl_km_kn_mn_v1r3ILi256EDF16_fDF16_LNS_25InMemoryDataOperationEnumE0ENS_16TensorDescriptorINS_5TupleIJNS_5EmbedINS4_IJiiEEENS4_IJNS_17integral_constantIiLi1EEEiEEELb0EEENS_7UnMergeINS4_IJiNS7_IiLi2EEEEEELb0EEENS_11PassThroughIiEEEEENS4_IJNS_8SequenceIJLi0EEEENSI_IJLi2EEEENSI_IJLi1EEEEEEENS4_IJNSI_IJLi1ELi2EEEENSI_IJLi3ELi4EEEENSI_IJLi5EEEEEEENSI_IJLi3ELi5ELi4EEEElEENS3_INS4_IJNS5_IS6_NS4_IJiS8_EEELb0EEESE_SG_EEENS4_IJSJ_SL_SK_EEESQ_SR_lEENS3_INS4_IJSU_SG_SG_EEESW_NS4_IJSN_NSI_IJLi3EEEENSI_IJLi4EEEEEEESO_lEELi128ELi128ELi16ELi2ELi4ELi4ELi1ENSI_IJLi8ELi2EEEES13_NSI_IJLi2ELi1ELi4ELi2EEEENSI_IJLi8ELi1ELi32ELi1EEEENSI_IJLi0ELi3ELi1ELi2EEEES16_NSI_IJLi1ELi1ELi4ELi1EEEES16_NSI_IJLi1ELi1ELi4ELi2EEEES14_S15_S16_S16_S17_S16_S18_NSI_IJLi0ELi1ELi2ELi3ELi4ELi5EEEELi5ELi4EEEDF16_DF16_NS3_INS4_IJSA_SE_SG_SG_NSB_INS4_IJiNS7_IiLi128EEEEEELb0EEENSF_ISC_EEEEENS4_IJSJ_SK_SL_SZ_SP_S10_EEENS4_IJSN_SO_SP_NSI_IJLi6EEEENSI_IJLi7ELi8EEEENSI_IJLi9EEEEEEENSI_IJLi6ELi7ELi8ELi9EEEElEENS3_INS4_IJSU_SE_SG_SG_S1D_S1E_EEENS4_IJSJ_SL_SK_SZ_SP_S10_EEES1K_S1L_lEENS3_INS4_IJSU_SG_SG_NSB_INS4_IJiSC_NS7_IiLi64EEEEEELb0EEES1S_EEENS4_IJSJ_SL_SK_SZ_S10_EEENS4_IJSN_SZ_S10_NSI_IJLi5ELi6ELi7EEEENSI_IJLi8ELi9ELi10EEEEEEENSI_IJLi5ELi6ELi7ELi8ELi9ELi10EEEElEENS_31BlockToCTileMap_M00_N00_M01_N01ILi128ELi128ES12_Lb0EEELb1ELb1EEEvPKT0_S24_PT1_T2_T3_T4_T5_,"axG",@progbits,_ZN2ck19kernel_gemm_dl_v1r3INS_28GridwiseGemmDl_km_kn_mn_v1r3ILi256EDF16_fDF16_LNS_25InMemoryDataOperationEnumE0ENS_16TensorDescriptorINS_5TupleIJNS_5EmbedINS4_IJiiEEENS4_IJNS_17integral_constantIiLi1EEEiEEELb0EEENS_7UnMergeINS4_IJiNS7_IiLi2EEEEEELb0EEENS_11PassThroughIiEEEEENS4_IJNS_8SequenceIJLi0EEEENSI_IJLi2EEEENSI_IJLi1EEEEEEENS4_IJNSI_IJLi1ELi2EEEENSI_IJLi3ELi4EEEENSI_IJLi5EEEEEEENSI_IJLi3ELi5ELi4EEEElEENS3_INS4_IJNS5_IS6_NS4_IJiS8_EEELb0EEESE_SG_EEENS4_IJSJ_SL_SK_EEESQ_SR_lEENS3_INS4_IJSU_SG_SG_EEESW_NS4_IJSN_NSI_IJLi3EEEENSI_IJLi4EEEEEEESO_lEELi128ELi128ELi16ELi2ELi4ELi4ELi1ENSI_IJLi8ELi2EEEES13_NSI_IJLi2ELi1ELi4ELi2EEEENSI_IJLi8ELi1ELi32ELi1EEEENSI_IJLi0ELi3ELi1ELi2EEEES16_NSI_IJLi1ELi1ELi4ELi1EEEES16_NSI_IJLi1ELi1ELi4ELi2EEEES14_S15_S16_S16_S17_S16_S18_NSI_IJLi0ELi1ELi2ELi3ELi4ELi5EEEELi5ELi4EEEDF16_DF16_NS3_INS4_IJSA_SE_SG_SG_NSB_INS4_IJiNS7_IiLi128EEEEEELb0EEENSF_ISC_EEEEENS4_IJSJ_SK_SL_SZ_SP_S10_EEENS4_IJSN_SO_SP_NSI_IJLi6EEEENSI_IJLi7ELi8EEEENSI_IJLi9EEEEEEENSI_IJLi6ELi7ELi8ELi9EEEElEENS3_INS4_IJSU_SE_SG_SG_S1D_S1E_EEENS4_IJSJ_SL_SK_SZ_SP_S10_EEES1K_S1L_lEENS3_INS4_IJSU_SG_SG_NSB_INS4_IJiSC_NS7_IiLi64EEEEEELb0EEES1S_EEENS4_IJSJ_SL_SK_SZ_S10_EEENS4_IJSN_SZ_S10_NSI_IJLi5ELi6ELi7EEEENSI_IJLi8ELi9ELi10EEEEEEENSI_IJLi5ELi6ELi7ELi8ELi9ELi10EEEElEENS_31BlockToCTileMap_M00_N00_M01_N01ILi128ELi128ES12_Lb0EEELb1ELb1EEEvPKT0_S24_PT1_T2_T3_T4_T5_,comdat
.Lfunc_end1:
	.size	_ZN2ck19kernel_gemm_dl_v1r3INS_28GridwiseGemmDl_km_kn_mn_v1r3ILi256EDF16_fDF16_LNS_25InMemoryDataOperationEnumE0ENS_16TensorDescriptorINS_5TupleIJNS_5EmbedINS4_IJiiEEENS4_IJNS_17integral_constantIiLi1EEEiEEELb0EEENS_7UnMergeINS4_IJiNS7_IiLi2EEEEEELb0EEENS_11PassThroughIiEEEEENS4_IJNS_8SequenceIJLi0EEEENSI_IJLi2EEEENSI_IJLi1EEEEEEENS4_IJNSI_IJLi1ELi2EEEENSI_IJLi3ELi4EEEENSI_IJLi5EEEEEEENSI_IJLi3ELi5ELi4EEEElEENS3_INS4_IJNS5_IS6_NS4_IJiS8_EEELb0EEESE_SG_EEENS4_IJSJ_SL_SK_EEESQ_SR_lEENS3_INS4_IJSU_SG_SG_EEESW_NS4_IJSN_NSI_IJLi3EEEENSI_IJLi4EEEEEEESO_lEELi128ELi128ELi16ELi2ELi4ELi4ELi1ENSI_IJLi8ELi2EEEES13_NSI_IJLi2ELi1ELi4ELi2EEEENSI_IJLi8ELi1ELi32ELi1EEEENSI_IJLi0ELi3ELi1ELi2EEEES16_NSI_IJLi1ELi1ELi4ELi1EEEES16_NSI_IJLi1ELi1ELi4ELi2EEEES14_S15_S16_S16_S17_S16_S18_NSI_IJLi0ELi1ELi2ELi3ELi4ELi5EEEELi5ELi4EEEDF16_DF16_NS3_INS4_IJSA_SE_SG_SG_NSB_INS4_IJiNS7_IiLi128EEEEEELb0EEENSF_ISC_EEEEENS4_IJSJ_SK_SL_SZ_SP_S10_EEENS4_IJSN_SO_SP_NSI_IJLi6EEEENSI_IJLi7ELi8EEEENSI_IJLi9EEEEEEENSI_IJLi6ELi7ELi8ELi9EEEElEENS3_INS4_IJSU_SE_SG_SG_S1D_S1E_EEENS4_IJSJ_SL_SK_SZ_SP_S10_EEES1K_S1L_lEENS3_INS4_IJSU_SG_SG_NSB_INS4_IJiSC_NS7_IiLi64EEEEEELb0EEES1S_EEENS4_IJSJ_SL_SK_SZ_S10_EEENS4_IJSN_SZ_S10_NSI_IJLi5ELi6ELi7EEEENSI_IJLi8ELi9ELi10EEEEEEENSI_IJLi5ELi6ELi7ELi8ELi9ELi10EEEElEENS_31BlockToCTileMap_M00_N00_M01_N01ILi128ELi128ES12_Lb0EEELb1ELb1EEEvPKT0_S24_PT1_T2_T3_T4_T5_, .Lfunc_end1-_ZN2ck19kernel_gemm_dl_v1r3INS_28GridwiseGemmDl_km_kn_mn_v1r3ILi256EDF16_fDF16_LNS_25InMemoryDataOperationEnumE0ENS_16TensorDescriptorINS_5TupleIJNS_5EmbedINS4_IJiiEEENS4_IJNS_17integral_constantIiLi1EEEiEEELb0EEENS_7UnMergeINS4_IJiNS7_IiLi2EEEEEELb0EEENS_11PassThroughIiEEEEENS4_IJNS_8SequenceIJLi0EEEENSI_IJLi2EEEENSI_IJLi1EEEEEEENS4_IJNSI_IJLi1ELi2EEEENSI_IJLi3ELi4EEEENSI_IJLi5EEEEEEENSI_IJLi3ELi5ELi4EEEElEENS3_INS4_IJNS5_IS6_NS4_IJiS8_EEELb0EEESE_SG_EEENS4_IJSJ_SL_SK_EEESQ_SR_lEENS3_INS4_IJSU_SG_SG_EEESW_NS4_IJSN_NSI_IJLi3EEEENSI_IJLi4EEEEEEESO_lEELi128ELi128ELi16ELi2ELi4ELi4ELi1ENSI_IJLi8ELi2EEEES13_NSI_IJLi2ELi1ELi4ELi2EEEENSI_IJLi8ELi1ELi32ELi1EEEENSI_IJLi0ELi3ELi1ELi2EEEES16_NSI_IJLi1ELi1ELi4ELi1EEEES16_NSI_IJLi1ELi1ELi4ELi2EEEES14_S15_S16_S16_S17_S16_S18_NSI_IJLi0ELi1ELi2ELi3ELi4ELi5EEEELi5ELi4EEEDF16_DF16_NS3_INS4_IJSA_SE_SG_SG_NSB_INS4_IJiNS7_IiLi128EEEEEELb0EEENSF_ISC_EEEEENS4_IJSJ_SK_SL_SZ_SP_S10_EEENS4_IJSN_SO_SP_NSI_IJLi6EEEENSI_IJLi7ELi8EEEENSI_IJLi9EEEEEEENSI_IJLi6ELi7ELi8ELi9EEEElEENS3_INS4_IJSU_SE_SG_SG_S1D_S1E_EEENS4_IJSJ_SL_SK_SZ_SP_S10_EEES1K_S1L_lEENS3_INS4_IJSU_SG_SG_NSB_INS4_IJiSC_NS7_IiLi64EEEEEELb0EEES1S_EEENS4_IJSJ_SL_SK_SZ_S10_EEENS4_IJSN_SZ_S10_NSI_IJLi5ELi6ELi7EEEENSI_IJLi8ELi9ELi10EEEEEEENSI_IJLi5ELi6ELi7ELi8ELi9ELi10EEEElEENS_31BlockToCTileMap_M00_N00_M01_N01ILi128ELi128ES12_Lb0EEELb1ELb1EEEvPKT0_S24_PT1_T2_T3_T4_T5_
                                        ; -- End function
	.set _ZN2ck19kernel_gemm_dl_v1r3INS_28GridwiseGemmDl_km_kn_mn_v1r3ILi256EDF16_fDF16_LNS_25InMemoryDataOperationEnumE0ENS_16TensorDescriptorINS_5TupleIJNS_5EmbedINS4_IJiiEEENS4_IJNS_17integral_constantIiLi1EEEiEEELb0EEENS_7UnMergeINS4_IJiNS7_IiLi2EEEEEELb0EEENS_11PassThroughIiEEEEENS4_IJNS_8SequenceIJLi0EEEENSI_IJLi2EEEENSI_IJLi1EEEEEEENS4_IJNSI_IJLi1ELi2EEEENSI_IJLi3ELi4EEEENSI_IJLi5EEEEEEENSI_IJLi3ELi5ELi4EEEElEENS3_INS4_IJNS5_IS6_NS4_IJiS8_EEELb0EEESE_SG_EEENS4_IJSJ_SL_SK_EEESQ_SR_lEENS3_INS4_IJSU_SG_SG_EEESW_NS4_IJSN_NSI_IJLi3EEEENSI_IJLi4EEEEEEESO_lEELi128ELi128ELi16ELi2ELi4ELi4ELi1ENSI_IJLi8ELi2EEEES13_NSI_IJLi2ELi1ELi4ELi2EEEENSI_IJLi8ELi1ELi32ELi1EEEENSI_IJLi0ELi3ELi1ELi2EEEES16_NSI_IJLi1ELi1ELi4ELi1EEEES16_NSI_IJLi1ELi1ELi4ELi2EEEES14_S15_S16_S16_S17_S16_S18_NSI_IJLi0ELi1ELi2ELi3ELi4ELi5EEEELi5ELi4EEEDF16_DF16_NS3_INS4_IJSA_SE_SG_SG_NSB_INS4_IJiNS7_IiLi128EEEEEELb0EEENSF_ISC_EEEEENS4_IJSJ_SK_SL_SZ_SP_S10_EEENS4_IJSN_SO_SP_NSI_IJLi6EEEENSI_IJLi7ELi8EEEENSI_IJLi9EEEEEEENSI_IJLi6ELi7ELi8ELi9EEEElEENS3_INS4_IJSU_SE_SG_SG_S1D_S1E_EEENS4_IJSJ_SL_SK_SZ_SP_S10_EEES1K_S1L_lEENS3_INS4_IJSU_SG_SG_NSB_INS4_IJiSC_NS7_IiLi64EEEEEELb0EEES1S_EEENS4_IJSJ_SL_SK_SZ_S10_EEENS4_IJSN_SZ_S10_NSI_IJLi5ELi6ELi7EEEENSI_IJLi8ELi9ELi10EEEEEEENSI_IJLi5ELi6ELi7ELi8ELi9ELi10EEEElEENS_31BlockToCTileMap_M00_N00_M01_N01ILi128ELi128ES12_Lb0EEELb1ELb1EEEvPKT0_S24_PT1_T2_T3_T4_T5_.num_vgpr, 128
	.set _ZN2ck19kernel_gemm_dl_v1r3INS_28GridwiseGemmDl_km_kn_mn_v1r3ILi256EDF16_fDF16_LNS_25InMemoryDataOperationEnumE0ENS_16TensorDescriptorINS_5TupleIJNS_5EmbedINS4_IJiiEEENS4_IJNS_17integral_constantIiLi1EEEiEEELb0EEENS_7UnMergeINS4_IJiNS7_IiLi2EEEEEELb0EEENS_11PassThroughIiEEEEENS4_IJNS_8SequenceIJLi0EEEENSI_IJLi2EEEENSI_IJLi1EEEEEEENS4_IJNSI_IJLi1ELi2EEEENSI_IJLi3ELi4EEEENSI_IJLi5EEEEEEENSI_IJLi3ELi5ELi4EEEElEENS3_INS4_IJNS5_IS6_NS4_IJiS8_EEELb0EEESE_SG_EEENS4_IJSJ_SL_SK_EEESQ_SR_lEENS3_INS4_IJSU_SG_SG_EEESW_NS4_IJSN_NSI_IJLi3EEEENSI_IJLi4EEEEEEESO_lEELi128ELi128ELi16ELi2ELi4ELi4ELi1ENSI_IJLi8ELi2EEEES13_NSI_IJLi2ELi1ELi4ELi2EEEENSI_IJLi8ELi1ELi32ELi1EEEENSI_IJLi0ELi3ELi1ELi2EEEES16_NSI_IJLi1ELi1ELi4ELi1EEEES16_NSI_IJLi1ELi1ELi4ELi2EEEES14_S15_S16_S16_S17_S16_S18_NSI_IJLi0ELi1ELi2ELi3ELi4ELi5EEEELi5ELi4EEEDF16_DF16_NS3_INS4_IJSA_SE_SG_SG_NSB_INS4_IJiNS7_IiLi128EEEEEELb0EEENSF_ISC_EEEEENS4_IJSJ_SK_SL_SZ_SP_S10_EEENS4_IJSN_SO_SP_NSI_IJLi6EEEENSI_IJLi7ELi8EEEENSI_IJLi9EEEEEEENSI_IJLi6ELi7ELi8ELi9EEEElEENS3_INS4_IJSU_SE_SG_SG_S1D_S1E_EEENS4_IJSJ_SL_SK_SZ_SP_S10_EEES1K_S1L_lEENS3_INS4_IJSU_SG_SG_NSB_INS4_IJiSC_NS7_IiLi64EEEEEELb0EEES1S_EEENS4_IJSJ_SL_SK_SZ_S10_EEENS4_IJSN_SZ_S10_NSI_IJLi5ELi6ELi7EEEENSI_IJLi8ELi9ELi10EEEEEEENSI_IJLi5ELi6ELi7ELi8ELi9ELi10EEEElEENS_31BlockToCTileMap_M00_N00_M01_N01ILi128ELi128ES12_Lb0EEELb1ELb1EEEvPKT0_S24_PT1_T2_T3_T4_T5_.num_agpr, 0
	.set _ZN2ck19kernel_gemm_dl_v1r3INS_28GridwiseGemmDl_km_kn_mn_v1r3ILi256EDF16_fDF16_LNS_25InMemoryDataOperationEnumE0ENS_16TensorDescriptorINS_5TupleIJNS_5EmbedINS4_IJiiEEENS4_IJNS_17integral_constantIiLi1EEEiEEELb0EEENS_7UnMergeINS4_IJiNS7_IiLi2EEEEEELb0EEENS_11PassThroughIiEEEEENS4_IJNS_8SequenceIJLi0EEEENSI_IJLi2EEEENSI_IJLi1EEEEEEENS4_IJNSI_IJLi1ELi2EEEENSI_IJLi3ELi4EEEENSI_IJLi5EEEEEEENSI_IJLi3ELi5ELi4EEEElEENS3_INS4_IJNS5_IS6_NS4_IJiS8_EEELb0EEESE_SG_EEENS4_IJSJ_SL_SK_EEESQ_SR_lEENS3_INS4_IJSU_SG_SG_EEESW_NS4_IJSN_NSI_IJLi3EEEENSI_IJLi4EEEEEEESO_lEELi128ELi128ELi16ELi2ELi4ELi4ELi1ENSI_IJLi8ELi2EEEES13_NSI_IJLi2ELi1ELi4ELi2EEEENSI_IJLi8ELi1ELi32ELi1EEEENSI_IJLi0ELi3ELi1ELi2EEEES16_NSI_IJLi1ELi1ELi4ELi1EEEES16_NSI_IJLi1ELi1ELi4ELi2EEEES14_S15_S16_S16_S17_S16_S18_NSI_IJLi0ELi1ELi2ELi3ELi4ELi5EEEELi5ELi4EEEDF16_DF16_NS3_INS4_IJSA_SE_SG_SG_NSB_INS4_IJiNS7_IiLi128EEEEEELb0EEENSF_ISC_EEEEENS4_IJSJ_SK_SL_SZ_SP_S10_EEENS4_IJSN_SO_SP_NSI_IJLi6EEEENSI_IJLi7ELi8EEEENSI_IJLi9EEEEEEENSI_IJLi6ELi7ELi8ELi9EEEElEENS3_INS4_IJSU_SE_SG_SG_S1D_S1E_EEENS4_IJSJ_SL_SK_SZ_SP_S10_EEES1K_S1L_lEENS3_INS4_IJSU_SG_SG_NSB_INS4_IJiSC_NS7_IiLi64EEEEEELb0EEES1S_EEENS4_IJSJ_SL_SK_SZ_S10_EEENS4_IJSN_SZ_S10_NSI_IJLi5ELi6ELi7EEEENSI_IJLi8ELi9ELi10EEEEEEENSI_IJLi5ELi6ELi7ELi8ELi9ELi10EEEElEENS_31BlockToCTileMap_M00_N00_M01_N01ILi128ELi128ES12_Lb0EEELb1ELb1EEEvPKT0_S24_PT1_T2_T3_T4_T5_.numbered_sgpr, 48
	.set _ZN2ck19kernel_gemm_dl_v1r3INS_28GridwiseGemmDl_km_kn_mn_v1r3ILi256EDF16_fDF16_LNS_25InMemoryDataOperationEnumE0ENS_16TensorDescriptorINS_5TupleIJNS_5EmbedINS4_IJiiEEENS4_IJNS_17integral_constantIiLi1EEEiEEELb0EEENS_7UnMergeINS4_IJiNS7_IiLi2EEEEEELb0EEENS_11PassThroughIiEEEEENS4_IJNS_8SequenceIJLi0EEEENSI_IJLi2EEEENSI_IJLi1EEEEEEENS4_IJNSI_IJLi1ELi2EEEENSI_IJLi3ELi4EEEENSI_IJLi5EEEEEEENSI_IJLi3ELi5ELi4EEEElEENS3_INS4_IJNS5_IS6_NS4_IJiS8_EEELb0EEESE_SG_EEENS4_IJSJ_SL_SK_EEESQ_SR_lEENS3_INS4_IJSU_SG_SG_EEESW_NS4_IJSN_NSI_IJLi3EEEENSI_IJLi4EEEEEEESO_lEELi128ELi128ELi16ELi2ELi4ELi4ELi1ENSI_IJLi8ELi2EEEES13_NSI_IJLi2ELi1ELi4ELi2EEEENSI_IJLi8ELi1ELi32ELi1EEEENSI_IJLi0ELi3ELi1ELi2EEEES16_NSI_IJLi1ELi1ELi4ELi1EEEES16_NSI_IJLi1ELi1ELi4ELi2EEEES14_S15_S16_S16_S17_S16_S18_NSI_IJLi0ELi1ELi2ELi3ELi4ELi5EEEELi5ELi4EEEDF16_DF16_NS3_INS4_IJSA_SE_SG_SG_NSB_INS4_IJiNS7_IiLi128EEEEEELb0EEENSF_ISC_EEEEENS4_IJSJ_SK_SL_SZ_SP_S10_EEENS4_IJSN_SO_SP_NSI_IJLi6EEEENSI_IJLi7ELi8EEEENSI_IJLi9EEEEEEENSI_IJLi6ELi7ELi8ELi9EEEElEENS3_INS4_IJSU_SE_SG_SG_S1D_S1E_EEENS4_IJSJ_SL_SK_SZ_SP_S10_EEES1K_S1L_lEENS3_INS4_IJSU_SG_SG_NSB_INS4_IJiSC_NS7_IiLi64EEEEEELb0EEES1S_EEENS4_IJSJ_SL_SK_SZ_S10_EEENS4_IJSN_SZ_S10_NSI_IJLi5ELi6ELi7EEEENSI_IJLi8ELi9ELi10EEEEEEENSI_IJLi5ELi6ELi7ELi8ELi9ELi10EEEElEENS_31BlockToCTileMap_M00_N00_M01_N01ILi128ELi128ES12_Lb0EEELb1ELb1EEEvPKT0_S24_PT1_T2_T3_T4_T5_.num_named_barrier, 0
	.set _ZN2ck19kernel_gemm_dl_v1r3INS_28GridwiseGemmDl_km_kn_mn_v1r3ILi256EDF16_fDF16_LNS_25InMemoryDataOperationEnumE0ENS_16TensorDescriptorINS_5TupleIJNS_5EmbedINS4_IJiiEEENS4_IJNS_17integral_constantIiLi1EEEiEEELb0EEENS_7UnMergeINS4_IJiNS7_IiLi2EEEEEELb0EEENS_11PassThroughIiEEEEENS4_IJNS_8SequenceIJLi0EEEENSI_IJLi2EEEENSI_IJLi1EEEEEEENS4_IJNSI_IJLi1ELi2EEEENSI_IJLi3ELi4EEEENSI_IJLi5EEEEEEENSI_IJLi3ELi5ELi4EEEElEENS3_INS4_IJNS5_IS6_NS4_IJiS8_EEELb0EEESE_SG_EEENS4_IJSJ_SL_SK_EEESQ_SR_lEENS3_INS4_IJSU_SG_SG_EEESW_NS4_IJSN_NSI_IJLi3EEEENSI_IJLi4EEEEEEESO_lEELi128ELi128ELi16ELi2ELi4ELi4ELi1ENSI_IJLi8ELi2EEEES13_NSI_IJLi2ELi1ELi4ELi2EEEENSI_IJLi8ELi1ELi32ELi1EEEENSI_IJLi0ELi3ELi1ELi2EEEES16_NSI_IJLi1ELi1ELi4ELi1EEEES16_NSI_IJLi1ELi1ELi4ELi2EEEES14_S15_S16_S16_S17_S16_S18_NSI_IJLi0ELi1ELi2ELi3ELi4ELi5EEEELi5ELi4EEEDF16_DF16_NS3_INS4_IJSA_SE_SG_SG_NSB_INS4_IJiNS7_IiLi128EEEEEELb0EEENSF_ISC_EEEEENS4_IJSJ_SK_SL_SZ_SP_S10_EEENS4_IJSN_SO_SP_NSI_IJLi6EEEENSI_IJLi7ELi8EEEENSI_IJLi9EEEEEEENSI_IJLi6ELi7ELi8ELi9EEEElEENS3_INS4_IJSU_SE_SG_SG_S1D_S1E_EEENS4_IJSJ_SL_SK_SZ_SP_S10_EEES1K_S1L_lEENS3_INS4_IJSU_SG_SG_NSB_INS4_IJiSC_NS7_IiLi64EEEEEELb0EEES1S_EEENS4_IJSJ_SL_SK_SZ_S10_EEENS4_IJSN_SZ_S10_NSI_IJLi5ELi6ELi7EEEENSI_IJLi8ELi9ELi10EEEEEEENSI_IJLi5ELi6ELi7ELi8ELi9ELi10EEEElEENS_31BlockToCTileMap_M00_N00_M01_N01ILi128ELi128ES12_Lb0EEELb1ELb1EEEvPKT0_S24_PT1_T2_T3_T4_T5_.private_seg_size, 64
	.set _ZN2ck19kernel_gemm_dl_v1r3INS_28GridwiseGemmDl_km_kn_mn_v1r3ILi256EDF16_fDF16_LNS_25InMemoryDataOperationEnumE0ENS_16TensorDescriptorINS_5TupleIJNS_5EmbedINS4_IJiiEEENS4_IJNS_17integral_constantIiLi1EEEiEEELb0EEENS_7UnMergeINS4_IJiNS7_IiLi2EEEEEELb0EEENS_11PassThroughIiEEEEENS4_IJNS_8SequenceIJLi0EEEENSI_IJLi2EEEENSI_IJLi1EEEEEEENS4_IJNSI_IJLi1ELi2EEEENSI_IJLi3ELi4EEEENSI_IJLi5EEEEEEENSI_IJLi3ELi5ELi4EEEElEENS3_INS4_IJNS5_IS6_NS4_IJiS8_EEELb0EEESE_SG_EEENS4_IJSJ_SL_SK_EEESQ_SR_lEENS3_INS4_IJSU_SG_SG_EEESW_NS4_IJSN_NSI_IJLi3EEEENSI_IJLi4EEEEEEESO_lEELi128ELi128ELi16ELi2ELi4ELi4ELi1ENSI_IJLi8ELi2EEEES13_NSI_IJLi2ELi1ELi4ELi2EEEENSI_IJLi8ELi1ELi32ELi1EEEENSI_IJLi0ELi3ELi1ELi2EEEES16_NSI_IJLi1ELi1ELi4ELi1EEEES16_NSI_IJLi1ELi1ELi4ELi2EEEES14_S15_S16_S16_S17_S16_S18_NSI_IJLi0ELi1ELi2ELi3ELi4ELi5EEEELi5ELi4EEEDF16_DF16_NS3_INS4_IJSA_SE_SG_SG_NSB_INS4_IJiNS7_IiLi128EEEEEELb0EEENSF_ISC_EEEEENS4_IJSJ_SK_SL_SZ_SP_S10_EEENS4_IJSN_SO_SP_NSI_IJLi6EEEENSI_IJLi7ELi8EEEENSI_IJLi9EEEEEEENSI_IJLi6ELi7ELi8ELi9EEEElEENS3_INS4_IJSU_SE_SG_SG_S1D_S1E_EEENS4_IJSJ_SL_SK_SZ_SP_S10_EEES1K_S1L_lEENS3_INS4_IJSU_SG_SG_NSB_INS4_IJiSC_NS7_IiLi64EEEEEELb0EEES1S_EEENS4_IJSJ_SL_SK_SZ_S10_EEENS4_IJSN_SZ_S10_NSI_IJLi5ELi6ELi7EEEENSI_IJLi8ELi9ELi10EEEEEEENSI_IJLi5ELi6ELi7ELi8ELi9ELi10EEEElEENS_31BlockToCTileMap_M00_N00_M01_N01ILi128ELi128ES12_Lb0EEELb1ELb1EEEvPKT0_S24_PT1_T2_T3_T4_T5_.uses_vcc, 0
	.set _ZN2ck19kernel_gemm_dl_v1r3INS_28GridwiseGemmDl_km_kn_mn_v1r3ILi256EDF16_fDF16_LNS_25InMemoryDataOperationEnumE0ENS_16TensorDescriptorINS_5TupleIJNS_5EmbedINS4_IJiiEEENS4_IJNS_17integral_constantIiLi1EEEiEEELb0EEENS_7UnMergeINS4_IJiNS7_IiLi2EEEEEELb0EEENS_11PassThroughIiEEEEENS4_IJNS_8SequenceIJLi0EEEENSI_IJLi2EEEENSI_IJLi1EEEEEEENS4_IJNSI_IJLi1ELi2EEEENSI_IJLi3ELi4EEEENSI_IJLi5EEEEEEENSI_IJLi3ELi5ELi4EEEElEENS3_INS4_IJNS5_IS6_NS4_IJiS8_EEELb0EEESE_SG_EEENS4_IJSJ_SL_SK_EEESQ_SR_lEENS3_INS4_IJSU_SG_SG_EEESW_NS4_IJSN_NSI_IJLi3EEEENSI_IJLi4EEEEEEESO_lEELi128ELi128ELi16ELi2ELi4ELi4ELi1ENSI_IJLi8ELi2EEEES13_NSI_IJLi2ELi1ELi4ELi2EEEENSI_IJLi8ELi1ELi32ELi1EEEENSI_IJLi0ELi3ELi1ELi2EEEES16_NSI_IJLi1ELi1ELi4ELi1EEEES16_NSI_IJLi1ELi1ELi4ELi2EEEES14_S15_S16_S16_S17_S16_S18_NSI_IJLi0ELi1ELi2ELi3ELi4ELi5EEEELi5ELi4EEEDF16_DF16_NS3_INS4_IJSA_SE_SG_SG_NSB_INS4_IJiNS7_IiLi128EEEEEELb0EEENSF_ISC_EEEEENS4_IJSJ_SK_SL_SZ_SP_S10_EEENS4_IJSN_SO_SP_NSI_IJLi6EEEENSI_IJLi7ELi8EEEENSI_IJLi9EEEEEEENSI_IJLi6ELi7ELi8ELi9EEEElEENS3_INS4_IJSU_SE_SG_SG_S1D_S1E_EEENS4_IJSJ_SL_SK_SZ_SP_S10_EEES1K_S1L_lEENS3_INS4_IJSU_SG_SG_NSB_INS4_IJiSC_NS7_IiLi64EEEEEELb0EEES1S_EEENS4_IJSJ_SL_SK_SZ_S10_EEENS4_IJSN_SZ_S10_NSI_IJLi5ELi6ELi7EEEENSI_IJLi8ELi9ELi10EEEEEEENSI_IJLi5ELi6ELi7ELi8ELi9ELi10EEEElEENS_31BlockToCTileMap_M00_N00_M01_N01ILi128ELi128ES12_Lb0EEELb1ELb1EEEvPKT0_S24_PT1_T2_T3_T4_T5_.uses_flat_scratch, 0
	.set _ZN2ck19kernel_gemm_dl_v1r3INS_28GridwiseGemmDl_km_kn_mn_v1r3ILi256EDF16_fDF16_LNS_25InMemoryDataOperationEnumE0ENS_16TensorDescriptorINS_5TupleIJNS_5EmbedINS4_IJiiEEENS4_IJNS_17integral_constantIiLi1EEEiEEELb0EEENS_7UnMergeINS4_IJiNS7_IiLi2EEEEEELb0EEENS_11PassThroughIiEEEEENS4_IJNS_8SequenceIJLi0EEEENSI_IJLi2EEEENSI_IJLi1EEEEEEENS4_IJNSI_IJLi1ELi2EEEENSI_IJLi3ELi4EEEENSI_IJLi5EEEEEEENSI_IJLi3ELi5ELi4EEEElEENS3_INS4_IJNS5_IS6_NS4_IJiS8_EEELb0EEESE_SG_EEENS4_IJSJ_SL_SK_EEESQ_SR_lEENS3_INS4_IJSU_SG_SG_EEESW_NS4_IJSN_NSI_IJLi3EEEENSI_IJLi4EEEEEEESO_lEELi128ELi128ELi16ELi2ELi4ELi4ELi1ENSI_IJLi8ELi2EEEES13_NSI_IJLi2ELi1ELi4ELi2EEEENSI_IJLi8ELi1ELi32ELi1EEEENSI_IJLi0ELi3ELi1ELi2EEEES16_NSI_IJLi1ELi1ELi4ELi1EEEES16_NSI_IJLi1ELi1ELi4ELi2EEEES14_S15_S16_S16_S17_S16_S18_NSI_IJLi0ELi1ELi2ELi3ELi4ELi5EEEELi5ELi4EEEDF16_DF16_NS3_INS4_IJSA_SE_SG_SG_NSB_INS4_IJiNS7_IiLi128EEEEEELb0EEENSF_ISC_EEEEENS4_IJSJ_SK_SL_SZ_SP_S10_EEENS4_IJSN_SO_SP_NSI_IJLi6EEEENSI_IJLi7ELi8EEEENSI_IJLi9EEEEEEENSI_IJLi6ELi7ELi8ELi9EEEElEENS3_INS4_IJSU_SE_SG_SG_S1D_S1E_EEENS4_IJSJ_SL_SK_SZ_SP_S10_EEES1K_S1L_lEENS3_INS4_IJSU_SG_SG_NSB_INS4_IJiSC_NS7_IiLi64EEEEEELb0EEES1S_EEENS4_IJSJ_SL_SK_SZ_S10_EEENS4_IJSN_SZ_S10_NSI_IJLi5ELi6ELi7EEEENSI_IJLi8ELi9ELi10EEEEEEENSI_IJLi5ELi6ELi7ELi8ELi9ELi10EEEElEENS_31BlockToCTileMap_M00_N00_M01_N01ILi128ELi128ES12_Lb0EEELb1ELb1EEEvPKT0_S24_PT1_T2_T3_T4_T5_.has_dyn_sized_stack, 0
	.set _ZN2ck19kernel_gemm_dl_v1r3INS_28GridwiseGemmDl_km_kn_mn_v1r3ILi256EDF16_fDF16_LNS_25InMemoryDataOperationEnumE0ENS_16TensorDescriptorINS_5TupleIJNS_5EmbedINS4_IJiiEEENS4_IJNS_17integral_constantIiLi1EEEiEEELb0EEENS_7UnMergeINS4_IJiNS7_IiLi2EEEEEELb0EEENS_11PassThroughIiEEEEENS4_IJNS_8SequenceIJLi0EEEENSI_IJLi2EEEENSI_IJLi1EEEEEEENS4_IJNSI_IJLi1ELi2EEEENSI_IJLi3ELi4EEEENSI_IJLi5EEEEEEENSI_IJLi3ELi5ELi4EEEElEENS3_INS4_IJNS5_IS6_NS4_IJiS8_EEELb0EEESE_SG_EEENS4_IJSJ_SL_SK_EEESQ_SR_lEENS3_INS4_IJSU_SG_SG_EEESW_NS4_IJSN_NSI_IJLi3EEEENSI_IJLi4EEEEEEESO_lEELi128ELi128ELi16ELi2ELi4ELi4ELi1ENSI_IJLi8ELi2EEEES13_NSI_IJLi2ELi1ELi4ELi2EEEENSI_IJLi8ELi1ELi32ELi1EEEENSI_IJLi0ELi3ELi1ELi2EEEES16_NSI_IJLi1ELi1ELi4ELi1EEEES16_NSI_IJLi1ELi1ELi4ELi2EEEES14_S15_S16_S16_S17_S16_S18_NSI_IJLi0ELi1ELi2ELi3ELi4ELi5EEEELi5ELi4EEEDF16_DF16_NS3_INS4_IJSA_SE_SG_SG_NSB_INS4_IJiNS7_IiLi128EEEEEELb0EEENSF_ISC_EEEEENS4_IJSJ_SK_SL_SZ_SP_S10_EEENS4_IJSN_SO_SP_NSI_IJLi6EEEENSI_IJLi7ELi8EEEENSI_IJLi9EEEEEEENSI_IJLi6ELi7ELi8ELi9EEEElEENS3_INS4_IJSU_SE_SG_SG_S1D_S1E_EEENS4_IJSJ_SL_SK_SZ_SP_S10_EEES1K_S1L_lEENS3_INS4_IJSU_SG_SG_NSB_INS4_IJiSC_NS7_IiLi64EEEEEELb0EEES1S_EEENS4_IJSJ_SL_SK_SZ_S10_EEENS4_IJSN_SZ_S10_NSI_IJLi5ELi6ELi7EEEENSI_IJLi8ELi9ELi10EEEEEEENSI_IJLi5ELi6ELi7ELi8ELi9ELi10EEEElEENS_31BlockToCTileMap_M00_N00_M01_N01ILi128ELi128ES12_Lb0EEELb1ELb1EEEvPKT0_S24_PT1_T2_T3_T4_T5_.has_recursion, 0
	.set _ZN2ck19kernel_gemm_dl_v1r3INS_28GridwiseGemmDl_km_kn_mn_v1r3ILi256EDF16_fDF16_LNS_25InMemoryDataOperationEnumE0ENS_16TensorDescriptorINS_5TupleIJNS_5EmbedINS4_IJiiEEENS4_IJNS_17integral_constantIiLi1EEEiEEELb0EEENS_7UnMergeINS4_IJiNS7_IiLi2EEEEEELb0EEENS_11PassThroughIiEEEEENS4_IJNS_8SequenceIJLi0EEEENSI_IJLi2EEEENSI_IJLi1EEEEEEENS4_IJNSI_IJLi1ELi2EEEENSI_IJLi3ELi4EEEENSI_IJLi5EEEEEEENSI_IJLi3ELi5ELi4EEEElEENS3_INS4_IJNS5_IS6_NS4_IJiS8_EEELb0EEESE_SG_EEENS4_IJSJ_SL_SK_EEESQ_SR_lEENS3_INS4_IJSU_SG_SG_EEESW_NS4_IJSN_NSI_IJLi3EEEENSI_IJLi4EEEEEEESO_lEELi128ELi128ELi16ELi2ELi4ELi4ELi1ENSI_IJLi8ELi2EEEES13_NSI_IJLi2ELi1ELi4ELi2EEEENSI_IJLi8ELi1ELi32ELi1EEEENSI_IJLi0ELi3ELi1ELi2EEEES16_NSI_IJLi1ELi1ELi4ELi1EEEES16_NSI_IJLi1ELi1ELi4ELi2EEEES14_S15_S16_S16_S17_S16_S18_NSI_IJLi0ELi1ELi2ELi3ELi4ELi5EEEELi5ELi4EEEDF16_DF16_NS3_INS4_IJSA_SE_SG_SG_NSB_INS4_IJiNS7_IiLi128EEEEEELb0EEENSF_ISC_EEEEENS4_IJSJ_SK_SL_SZ_SP_S10_EEENS4_IJSN_SO_SP_NSI_IJLi6EEEENSI_IJLi7ELi8EEEENSI_IJLi9EEEEEEENSI_IJLi6ELi7ELi8ELi9EEEElEENS3_INS4_IJSU_SE_SG_SG_S1D_S1E_EEENS4_IJSJ_SL_SK_SZ_SP_S10_EEES1K_S1L_lEENS3_INS4_IJSU_SG_SG_NSB_INS4_IJiSC_NS7_IiLi64EEEEEELb0EEES1S_EEENS4_IJSJ_SL_SK_SZ_S10_EEENS4_IJSN_SZ_S10_NSI_IJLi5ELi6ELi7EEEENSI_IJLi8ELi9ELi10EEEEEEENSI_IJLi5ELi6ELi7ELi8ELi9ELi10EEEElEENS_31BlockToCTileMap_M00_N00_M01_N01ILi128ELi128ES12_Lb0EEELb1ELb1EEEvPKT0_S24_PT1_T2_T3_T4_T5_.has_indirect_call, 0
	.section	.AMDGPU.csdata,"",@progbits
; Kernel info:
; codeLenInByte = 38944
; TotalNumSgprs: 52
; NumVgprs: 128
; ScratchSize: 64
; MemoryBound: 0
; FloatMode: 240
; IeeeMode: 1
; LDSByteSize: 32768 bytes/workgroup (compile time only)
; SGPRBlocks: 12
; VGPRBlocks: 31
; NumSGPRsForWavesPerEU: 102
; NumVGPRsForWavesPerEU: 128
; Occupancy: 2
; WaveLimiterHint : 0
; COMPUTE_PGM_RSRC2:SCRATCH_EN: 1
; COMPUTE_PGM_RSRC2:USER_SGPR: 6
; COMPUTE_PGM_RSRC2:TRAP_HANDLER: 0
; COMPUTE_PGM_RSRC2:TGID_X_EN: 1
; COMPUTE_PGM_RSRC2:TGID_Y_EN: 0
; COMPUTE_PGM_RSRC2:TGID_Z_EN: 0
; COMPUTE_PGM_RSRC2:TIDIG_COMP_CNT: 0
	.section	.text._ZN2ck19kernel_gemm_dl_v1r3INS_28GridwiseGemmDl_km_kn_mn_v1r3ILi256EDF16_fDF16_LNS_25InMemoryDataOperationEnumE0ENS_16TensorDescriptorINS_5TupleIJNS_5EmbedINS4_IJiiEEENS4_IJNS_17integral_constantIiLi1EEEiEEELb0EEENS_7UnMergeINS4_IJiNS7_IiLi2EEEEEELb0EEENS_11PassThroughIiEEEEENS4_IJNS_8SequenceIJLi0EEEENSI_IJLi2EEEENSI_IJLi1EEEEEEENS4_IJNSI_IJLi1ELi2EEEENSI_IJLi3ELi4EEEENSI_IJLi5EEEEEEENSI_IJLi3ELi5ELi4EEEElEENS3_INS4_IJNS5_IS6_NS4_IJiS8_EEELb0EEESE_SG_EEENS4_IJSJ_SL_SK_EEESQ_SR_lEENS3_INS4_IJSU_SG_SG_EEESW_NS4_IJSN_NSI_IJLi3EEEENSI_IJLi4EEEEEEESO_lEELi128ELi128ELi16ELi2ELi4ELi4ELi1ENSI_IJLi8ELi2EEEES13_NSI_IJLi2ELi1ELi4ELi2EEEENSI_IJLi8ELi1ELi32ELi1EEEENSI_IJLi0ELi3ELi1ELi2EEEES16_NSI_IJLi1ELi1ELi4ELi1EEEES16_NSI_IJLi1ELi1ELi4ELi2EEEES14_S15_S16_S16_S17_S16_S18_NSI_IJLi0ELi1ELi2ELi3ELi4ELi5EEEELi5ELi4EEEDF16_DF16_NS3_INS4_IJSA_SE_SG_SG_NSB_INS4_IJiNS7_IiLi128EEEEEELb0EEENSF_ISC_EEEEENS4_IJSJ_SK_SL_SZ_SP_S10_EEENS4_IJSN_SO_SP_NSI_IJLi6EEEENSI_IJLi7ELi8EEEENSI_IJLi9EEEEEEENSI_IJLi6ELi7ELi8ELi9EEEElEENS3_INS4_IJSU_SE_SG_SG_S1D_S1E_EEENS4_IJSJ_SL_SK_SZ_SP_S10_EEES1K_S1L_lEENS3_INS4_IJSU_SG_SG_NSB_INS4_IJiSC_NS7_IiLi64EEEEEELb0EEES1S_EEENS4_IJSJ_SL_SK_SZ_S10_EEENS4_IJSN_SZ_S10_NSI_IJLi5ELi6ELi7EEEENSI_IJLi8ELi9ELi10EEEEEEENSI_IJLi5ELi6ELi7ELi8ELi9ELi10EEEElEENS_31BlockToCTileMap_M00_N00_M01_N01ILi128ELi128ES12_Lb0EEELb1ELb0EEEvPKT0_S24_PT1_T2_T3_T4_T5_,"axG",@progbits,_ZN2ck19kernel_gemm_dl_v1r3INS_28GridwiseGemmDl_km_kn_mn_v1r3ILi256EDF16_fDF16_LNS_25InMemoryDataOperationEnumE0ENS_16TensorDescriptorINS_5TupleIJNS_5EmbedINS4_IJiiEEENS4_IJNS_17integral_constantIiLi1EEEiEEELb0EEENS_7UnMergeINS4_IJiNS7_IiLi2EEEEEELb0EEENS_11PassThroughIiEEEEENS4_IJNS_8SequenceIJLi0EEEENSI_IJLi2EEEENSI_IJLi1EEEEEEENS4_IJNSI_IJLi1ELi2EEEENSI_IJLi3ELi4EEEENSI_IJLi5EEEEEEENSI_IJLi3ELi5ELi4EEEElEENS3_INS4_IJNS5_IS6_NS4_IJiS8_EEELb0EEESE_SG_EEENS4_IJSJ_SL_SK_EEESQ_SR_lEENS3_INS4_IJSU_SG_SG_EEESW_NS4_IJSN_NSI_IJLi3EEEENSI_IJLi4EEEEEEESO_lEELi128ELi128ELi16ELi2ELi4ELi4ELi1ENSI_IJLi8ELi2EEEES13_NSI_IJLi2ELi1ELi4ELi2EEEENSI_IJLi8ELi1ELi32ELi1EEEENSI_IJLi0ELi3ELi1ELi2EEEES16_NSI_IJLi1ELi1ELi4ELi1EEEES16_NSI_IJLi1ELi1ELi4ELi2EEEES14_S15_S16_S16_S17_S16_S18_NSI_IJLi0ELi1ELi2ELi3ELi4ELi5EEEELi5ELi4EEEDF16_DF16_NS3_INS4_IJSA_SE_SG_SG_NSB_INS4_IJiNS7_IiLi128EEEEEELb0EEENSF_ISC_EEEEENS4_IJSJ_SK_SL_SZ_SP_S10_EEENS4_IJSN_SO_SP_NSI_IJLi6EEEENSI_IJLi7ELi8EEEENSI_IJLi9EEEEEEENSI_IJLi6ELi7ELi8ELi9EEEElEENS3_INS4_IJSU_SE_SG_SG_S1D_S1E_EEENS4_IJSJ_SL_SK_SZ_SP_S10_EEES1K_S1L_lEENS3_INS4_IJSU_SG_SG_NSB_INS4_IJiSC_NS7_IiLi64EEEEEELb0EEES1S_EEENS4_IJSJ_SL_SK_SZ_S10_EEENS4_IJSN_SZ_S10_NSI_IJLi5ELi6ELi7EEEENSI_IJLi8ELi9ELi10EEEEEEENSI_IJLi5ELi6ELi7ELi8ELi9ELi10EEEElEENS_31BlockToCTileMap_M00_N00_M01_N01ILi128ELi128ES12_Lb0EEELb1ELb0EEEvPKT0_S24_PT1_T2_T3_T4_T5_,comdat
	.protected	_ZN2ck19kernel_gemm_dl_v1r3INS_28GridwiseGemmDl_km_kn_mn_v1r3ILi256EDF16_fDF16_LNS_25InMemoryDataOperationEnumE0ENS_16TensorDescriptorINS_5TupleIJNS_5EmbedINS4_IJiiEEENS4_IJNS_17integral_constantIiLi1EEEiEEELb0EEENS_7UnMergeINS4_IJiNS7_IiLi2EEEEEELb0EEENS_11PassThroughIiEEEEENS4_IJNS_8SequenceIJLi0EEEENSI_IJLi2EEEENSI_IJLi1EEEEEEENS4_IJNSI_IJLi1ELi2EEEENSI_IJLi3ELi4EEEENSI_IJLi5EEEEEEENSI_IJLi3ELi5ELi4EEEElEENS3_INS4_IJNS5_IS6_NS4_IJiS8_EEELb0EEESE_SG_EEENS4_IJSJ_SL_SK_EEESQ_SR_lEENS3_INS4_IJSU_SG_SG_EEESW_NS4_IJSN_NSI_IJLi3EEEENSI_IJLi4EEEEEEESO_lEELi128ELi128ELi16ELi2ELi4ELi4ELi1ENSI_IJLi8ELi2EEEES13_NSI_IJLi2ELi1ELi4ELi2EEEENSI_IJLi8ELi1ELi32ELi1EEEENSI_IJLi0ELi3ELi1ELi2EEEES16_NSI_IJLi1ELi1ELi4ELi1EEEES16_NSI_IJLi1ELi1ELi4ELi2EEEES14_S15_S16_S16_S17_S16_S18_NSI_IJLi0ELi1ELi2ELi3ELi4ELi5EEEELi5ELi4EEEDF16_DF16_NS3_INS4_IJSA_SE_SG_SG_NSB_INS4_IJiNS7_IiLi128EEEEEELb0EEENSF_ISC_EEEEENS4_IJSJ_SK_SL_SZ_SP_S10_EEENS4_IJSN_SO_SP_NSI_IJLi6EEEENSI_IJLi7ELi8EEEENSI_IJLi9EEEEEEENSI_IJLi6ELi7ELi8ELi9EEEElEENS3_INS4_IJSU_SE_SG_SG_S1D_S1E_EEENS4_IJSJ_SL_SK_SZ_SP_S10_EEES1K_S1L_lEENS3_INS4_IJSU_SG_SG_NSB_INS4_IJiSC_NS7_IiLi64EEEEEELb0EEES1S_EEENS4_IJSJ_SL_SK_SZ_S10_EEENS4_IJSN_SZ_S10_NSI_IJLi5ELi6ELi7EEEENSI_IJLi8ELi9ELi10EEEEEEENSI_IJLi5ELi6ELi7ELi8ELi9ELi10EEEElEENS_31BlockToCTileMap_M00_N00_M01_N01ILi128ELi128ES12_Lb0EEELb1ELb0EEEvPKT0_S24_PT1_T2_T3_T4_T5_ ; -- Begin function _ZN2ck19kernel_gemm_dl_v1r3INS_28GridwiseGemmDl_km_kn_mn_v1r3ILi256EDF16_fDF16_LNS_25InMemoryDataOperationEnumE0ENS_16TensorDescriptorINS_5TupleIJNS_5EmbedINS4_IJiiEEENS4_IJNS_17integral_constantIiLi1EEEiEEELb0EEENS_7UnMergeINS4_IJiNS7_IiLi2EEEEEELb0EEENS_11PassThroughIiEEEEENS4_IJNS_8SequenceIJLi0EEEENSI_IJLi2EEEENSI_IJLi1EEEEEEENS4_IJNSI_IJLi1ELi2EEEENSI_IJLi3ELi4EEEENSI_IJLi5EEEEEEENSI_IJLi3ELi5ELi4EEEElEENS3_INS4_IJNS5_IS6_NS4_IJiS8_EEELb0EEESE_SG_EEENS4_IJSJ_SL_SK_EEESQ_SR_lEENS3_INS4_IJSU_SG_SG_EEESW_NS4_IJSN_NSI_IJLi3EEEENSI_IJLi4EEEEEEESO_lEELi128ELi128ELi16ELi2ELi4ELi4ELi1ENSI_IJLi8ELi2EEEES13_NSI_IJLi2ELi1ELi4ELi2EEEENSI_IJLi8ELi1ELi32ELi1EEEENSI_IJLi0ELi3ELi1ELi2EEEES16_NSI_IJLi1ELi1ELi4ELi1EEEES16_NSI_IJLi1ELi1ELi4ELi2EEEES14_S15_S16_S16_S17_S16_S18_NSI_IJLi0ELi1ELi2ELi3ELi4ELi5EEEELi5ELi4EEEDF16_DF16_NS3_INS4_IJSA_SE_SG_SG_NSB_INS4_IJiNS7_IiLi128EEEEEELb0EEENSF_ISC_EEEEENS4_IJSJ_SK_SL_SZ_SP_S10_EEENS4_IJSN_SO_SP_NSI_IJLi6EEEENSI_IJLi7ELi8EEEENSI_IJLi9EEEEEEENSI_IJLi6ELi7ELi8ELi9EEEElEENS3_INS4_IJSU_SE_SG_SG_S1D_S1E_EEENS4_IJSJ_SL_SK_SZ_SP_S10_EEES1K_S1L_lEENS3_INS4_IJSU_SG_SG_NSB_INS4_IJiSC_NS7_IiLi64EEEEEELb0EEES1S_EEENS4_IJSJ_SL_SK_SZ_S10_EEENS4_IJSN_SZ_S10_NSI_IJLi5ELi6ELi7EEEENSI_IJLi8ELi9ELi10EEEEEEENSI_IJLi5ELi6ELi7ELi8ELi9ELi10EEEElEENS_31BlockToCTileMap_M00_N00_M01_N01ILi128ELi128ES12_Lb0EEELb1ELb0EEEvPKT0_S24_PT1_T2_T3_T4_T5_
	.globl	_ZN2ck19kernel_gemm_dl_v1r3INS_28GridwiseGemmDl_km_kn_mn_v1r3ILi256EDF16_fDF16_LNS_25InMemoryDataOperationEnumE0ENS_16TensorDescriptorINS_5TupleIJNS_5EmbedINS4_IJiiEEENS4_IJNS_17integral_constantIiLi1EEEiEEELb0EEENS_7UnMergeINS4_IJiNS7_IiLi2EEEEEELb0EEENS_11PassThroughIiEEEEENS4_IJNS_8SequenceIJLi0EEEENSI_IJLi2EEEENSI_IJLi1EEEEEEENS4_IJNSI_IJLi1ELi2EEEENSI_IJLi3ELi4EEEENSI_IJLi5EEEEEEENSI_IJLi3ELi5ELi4EEEElEENS3_INS4_IJNS5_IS6_NS4_IJiS8_EEELb0EEESE_SG_EEENS4_IJSJ_SL_SK_EEESQ_SR_lEENS3_INS4_IJSU_SG_SG_EEESW_NS4_IJSN_NSI_IJLi3EEEENSI_IJLi4EEEEEEESO_lEELi128ELi128ELi16ELi2ELi4ELi4ELi1ENSI_IJLi8ELi2EEEES13_NSI_IJLi2ELi1ELi4ELi2EEEENSI_IJLi8ELi1ELi32ELi1EEEENSI_IJLi0ELi3ELi1ELi2EEEES16_NSI_IJLi1ELi1ELi4ELi1EEEES16_NSI_IJLi1ELi1ELi4ELi2EEEES14_S15_S16_S16_S17_S16_S18_NSI_IJLi0ELi1ELi2ELi3ELi4ELi5EEEELi5ELi4EEEDF16_DF16_NS3_INS4_IJSA_SE_SG_SG_NSB_INS4_IJiNS7_IiLi128EEEEEELb0EEENSF_ISC_EEEEENS4_IJSJ_SK_SL_SZ_SP_S10_EEENS4_IJSN_SO_SP_NSI_IJLi6EEEENSI_IJLi7ELi8EEEENSI_IJLi9EEEEEEENSI_IJLi6ELi7ELi8ELi9EEEElEENS3_INS4_IJSU_SE_SG_SG_S1D_S1E_EEENS4_IJSJ_SL_SK_SZ_SP_S10_EEES1K_S1L_lEENS3_INS4_IJSU_SG_SG_NSB_INS4_IJiSC_NS7_IiLi64EEEEEELb0EEES1S_EEENS4_IJSJ_SL_SK_SZ_S10_EEENS4_IJSN_SZ_S10_NSI_IJLi5ELi6ELi7EEEENSI_IJLi8ELi9ELi10EEEEEEENSI_IJLi5ELi6ELi7ELi8ELi9ELi10EEEElEENS_31BlockToCTileMap_M00_N00_M01_N01ILi128ELi128ES12_Lb0EEELb1ELb0EEEvPKT0_S24_PT1_T2_T3_T4_T5_
	.p2align	8
	.type	_ZN2ck19kernel_gemm_dl_v1r3INS_28GridwiseGemmDl_km_kn_mn_v1r3ILi256EDF16_fDF16_LNS_25InMemoryDataOperationEnumE0ENS_16TensorDescriptorINS_5TupleIJNS_5EmbedINS4_IJiiEEENS4_IJNS_17integral_constantIiLi1EEEiEEELb0EEENS_7UnMergeINS4_IJiNS7_IiLi2EEEEEELb0EEENS_11PassThroughIiEEEEENS4_IJNS_8SequenceIJLi0EEEENSI_IJLi2EEEENSI_IJLi1EEEEEEENS4_IJNSI_IJLi1ELi2EEEENSI_IJLi3ELi4EEEENSI_IJLi5EEEEEEENSI_IJLi3ELi5ELi4EEEElEENS3_INS4_IJNS5_IS6_NS4_IJiS8_EEELb0EEESE_SG_EEENS4_IJSJ_SL_SK_EEESQ_SR_lEENS3_INS4_IJSU_SG_SG_EEESW_NS4_IJSN_NSI_IJLi3EEEENSI_IJLi4EEEEEEESO_lEELi128ELi128ELi16ELi2ELi4ELi4ELi1ENSI_IJLi8ELi2EEEES13_NSI_IJLi2ELi1ELi4ELi2EEEENSI_IJLi8ELi1ELi32ELi1EEEENSI_IJLi0ELi3ELi1ELi2EEEES16_NSI_IJLi1ELi1ELi4ELi1EEEES16_NSI_IJLi1ELi1ELi4ELi2EEEES14_S15_S16_S16_S17_S16_S18_NSI_IJLi0ELi1ELi2ELi3ELi4ELi5EEEELi5ELi4EEEDF16_DF16_NS3_INS4_IJSA_SE_SG_SG_NSB_INS4_IJiNS7_IiLi128EEEEEELb0EEENSF_ISC_EEEEENS4_IJSJ_SK_SL_SZ_SP_S10_EEENS4_IJSN_SO_SP_NSI_IJLi6EEEENSI_IJLi7ELi8EEEENSI_IJLi9EEEEEEENSI_IJLi6ELi7ELi8ELi9EEEElEENS3_INS4_IJSU_SE_SG_SG_S1D_S1E_EEENS4_IJSJ_SL_SK_SZ_SP_S10_EEES1K_S1L_lEENS3_INS4_IJSU_SG_SG_NSB_INS4_IJiSC_NS7_IiLi64EEEEEELb0EEES1S_EEENS4_IJSJ_SL_SK_SZ_S10_EEENS4_IJSN_SZ_S10_NSI_IJLi5ELi6ELi7EEEENSI_IJLi8ELi9ELi10EEEEEEENSI_IJLi5ELi6ELi7ELi8ELi9ELi10EEEElEENS_31BlockToCTileMap_M00_N00_M01_N01ILi128ELi128ES12_Lb0EEELb1ELb0EEEvPKT0_S24_PT1_T2_T3_T4_T5_,@function
_ZN2ck19kernel_gemm_dl_v1r3INS_28GridwiseGemmDl_km_kn_mn_v1r3ILi256EDF16_fDF16_LNS_25InMemoryDataOperationEnumE0ENS_16TensorDescriptorINS_5TupleIJNS_5EmbedINS4_IJiiEEENS4_IJNS_17integral_constantIiLi1EEEiEEELb0EEENS_7UnMergeINS4_IJiNS7_IiLi2EEEEEELb0EEENS_11PassThroughIiEEEEENS4_IJNS_8SequenceIJLi0EEEENSI_IJLi2EEEENSI_IJLi1EEEEEEENS4_IJNSI_IJLi1ELi2EEEENSI_IJLi3ELi4EEEENSI_IJLi5EEEEEEENSI_IJLi3ELi5ELi4EEEElEENS3_INS4_IJNS5_IS6_NS4_IJiS8_EEELb0EEESE_SG_EEENS4_IJSJ_SL_SK_EEESQ_SR_lEENS3_INS4_IJSU_SG_SG_EEESW_NS4_IJSN_NSI_IJLi3EEEENSI_IJLi4EEEEEEESO_lEELi128ELi128ELi16ELi2ELi4ELi4ELi1ENSI_IJLi8ELi2EEEES13_NSI_IJLi2ELi1ELi4ELi2EEEENSI_IJLi8ELi1ELi32ELi1EEEENSI_IJLi0ELi3ELi1ELi2EEEES16_NSI_IJLi1ELi1ELi4ELi1EEEES16_NSI_IJLi1ELi1ELi4ELi2EEEES14_S15_S16_S16_S17_S16_S18_NSI_IJLi0ELi1ELi2ELi3ELi4ELi5EEEELi5ELi4EEEDF16_DF16_NS3_INS4_IJSA_SE_SG_SG_NSB_INS4_IJiNS7_IiLi128EEEEEELb0EEENSF_ISC_EEEEENS4_IJSJ_SK_SL_SZ_SP_S10_EEENS4_IJSN_SO_SP_NSI_IJLi6EEEENSI_IJLi7ELi8EEEENSI_IJLi9EEEEEEENSI_IJLi6ELi7ELi8ELi9EEEElEENS3_INS4_IJSU_SE_SG_SG_S1D_S1E_EEENS4_IJSJ_SL_SK_SZ_SP_S10_EEES1K_S1L_lEENS3_INS4_IJSU_SG_SG_NSB_INS4_IJiSC_NS7_IiLi64EEEEEELb0EEES1S_EEENS4_IJSJ_SL_SK_SZ_S10_EEENS4_IJSN_SZ_S10_NSI_IJLi5ELi6ELi7EEEENSI_IJLi8ELi9ELi10EEEEEEENSI_IJLi5ELi6ELi7ELi8ELi9ELi10EEEElEENS_31BlockToCTileMap_M00_N00_M01_N01ILi128ELi128ES12_Lb0EEELb1ELb0EEEvPKT0_S24_PT1_T2_T3_T4_T5_: ; @_ZN2ck19kernel_gemm_dl_v1r3INS_28GridwiseGemmDl_km_kn_mn_v1r3ILi256EDF16_fDF16_LNS_25InMemoryDataOperationEnumE0ENS_16TensorDescriptorINS_5TupleIJNS_5EmbedINS4_IJiiEEENS4_IJNS_17integral_constantIiLi1EEEiEEELb0EEENS_7UnMergeINS4_IJiNS7_IiLi2EEEEEELb0EEENS_11PassThroughIiEEEEENS4_IJNS_8SequenceIJLi0EEEENSI_IJLi2EEEENSI_IJLi1EEEEEEENS4_IJNSI_IJLi1ELi2EEEENSI_IJLi3ELi4EEEENSI_IJLi5EEEEEEENSI_IJLi3ELi5ELi4EEEElEENS3_INS4_IJNS5_IS6_NS4_IJiS8_EEELb0EEESE_SG_EEENS4_IJSJ_SL_SK_EEESQ_SR_lEENS3_INS4_IJSU_SG_SG_EEESW_NS4_IJSN_NSI_IJLi3EEEENSI_IJLi4EEEEEEESO_lEELi128ELi128ELi16ELi2ELi4ELi4ELi1ENSI_IJLi8ELi2EEEES13_NSI_IJLi2ELi1ELi4ELi2EEEENSI_IJLi8ELi1ELi32ELi1EEEENSI_IJLi0ELi3ELi1ELi2EEEES16_NSI_IJLi1ELi1ELi4ELi1EEEES16_NSI_IJLi1ELi1ELi4ELi2EEEES14_S15_S16_S16_S17_S16_S18_NSI_IJLi0ELi1ELi2ELi3ELi4ELi5EEEELi5ELi4EEEDF16_DF16_NS3_INS4_IJSA_SE_SG_SG_NSB_INS4_IJiNS7_IiLi128EEEEEELb0EEENSF_ISC_EEEEENS4_IJSJ_SK_SL_SZ_SP_S10_EEENS4_IJSN_SO_SP_NSI_IJLi6EEEENSI_IJLi7ELi8EEEENSI_IJLi9EEEEEEENSI_IJLi6ELi7ELi8ELi9EEEElEENS3_INS4_IJSU_SE_SG_SG_S1D_S1E_EEENS4_IJSJ_SL_SK_SZ_SP_S10_EEES1K_S1L_lEENS3_INS4_IJSU_SG_SG_NSB_INS4_IJiSC_NS7_IiLi64EEEEEELb0EEES1S_EEENS4_IJSJ_SL_SK_SZ_S10_EEENS4_IJSN_SZ_S10_NSI_IJLi5ELi6ELi7EEEENSI_IJLi8ELi9ELi10EEEEEEENSI_IJLi5ELi6ELi7ELi8ELi9ELi10EEEElEENS_31BlockToCTileMap_M00_N00_M01_N01ILi128ELi128ES12_Lb0EEELb1ELb0EEEvPKT0_S24_PT1_T2_T3_T4_T5_
; %bb.0:
	s_mov_b64 s[42:43], s[2:3]
	s_mov_b64 s[40:41], s[0:1]
	s_add_u32 s40, s40, s7
	s_load_dwordx4 s[12:15], s[4:5], 0x0
	s_load_dwordx2 s[0:1], s[4:5], 0x10
	s_load_dword s7, s[4:5], 0xfc
	s_load_dwordx4 s[8:11], s[4:5], 0x108
	s_load_dwordx4 s[20:23], s[4:5], 0x11c
	;; [unrolled: 1-line block ×3, first 2 shown]
	s_load_dword s38, s[4:5], 0x24
	s_load_dword s19, s[4:5], 0x38
	;; [unrolled: 1-line block ×6, first 2 shown]
	s_load_dwordx2 s[2:3], s[4:5], 0xd0
	s_waitcnt lgkmcnt(0)
	s_load_dword s3, s[4:5], 0xec
                                        ; kill: killed $sgpr4_sgpr5
	s_mul_hi_u32 s4, s23, s6
	s_addc_u32 s41, s41, 0
	s_add_i32 s4, s6, s4
	s_lshr_b32 s4, s4, s27
	s_mul_i32 s5, s4, s11
	s_sub_i32 s5, s6, s5
	s_mul_hi_u32 s6, s4, s22
	s_add_i32 s6, s4, s6
	s_lshr_b32 s6, s6, s26
	s_mul_i32 s10, s6, s10
	s_sub_i32 s4, s4, s10
	s_mul_hi_u32 s10, s6, s21
	;; [unrolled: 5-line block ×3, first 2 shown]
	s_add_i32 s9, s10, s9
	s_lshr_b32 s9, s9, s24
	s_mul_i32 s9, s9, s8
	s_sub_i32 s8, s10, s9
	v_lshrrev_b32_e32 v1, 4, v0
	s_waitcnt lgkmcnt(0)
	s_mul_i32 s8, s8, s3
	v_and_b32_e32 v28, 14, v1
	s_add_i32 s30, s4, s8
	v_lshlrev_b32_e32 v3, 2, v0
	v_lshlrev_b32_e32 v2, 1, v28
	v_and_b32_e32 v29, 0x7c, v3
	s_lshl_b32 s17, s30, 7
	v_mul_lo_u32 v4, s28, v2
	s_mul_i32 s6, s6, s7
	v_or_b32_e32 v1, s17, v29
	s_add_i32 s20, s5, s6
	v_mad_u64_u32 v[1:2], s[4:5], s38, v2, v[1:2]
	s_lshl_b32 s3, s20, 7
	v_add3_u32 v2, v4, v29, s3
	s_mov_b32 s7, 0x20000
	s_and_b32 s5, s13, 0xffff
	s_lshl_b32 s10, s29, 1
	s_and_b32 s9, s15, 0xffff
	s_mov_b32 s8, s14
	s_mov_b32 s11, s7
	v_lshlrev_b32_e32 v11, 1, v2
	v_add_u32_e32 v12, s28, v2
	s_lshl_b32 s13, s28, 1
	v_add_u32_e32 v9, s38, v1
	v_lshlrev_b32_e32 v13, 1, v12
	buffer_load_dwordx2 v[5:6], v11, s[8:11], 0 offen
	buffer_load_dwordx2 v[7:8], v13, s[8:11], 0 offen
	v_add_lshl_u32 v11, v12, s13, 1
	s_lshl_b32 s6, s18, 1
	s_mov_b32 s4, s12
	v_lshlrev_b32_e32 v4, 1, v1
	v_lshlrev_b32_e32 v10, 1, v9
	v_add_lshl_u32 v2, s13, v2, 1
	buffer_load_dwordx2 v[16:17], v11, s[8:11], 0 offen
	buffer_load_dwordx2 v[18:19], v2, s[8:11], 0 offen
	;; [unrolled: 1-line block ×4, first 2 shown]
	s_lshl_b32 s8, s38, 1
	v_add_lshl_u32 v2, v9, s8, 1
	v_add_lshl_u32 v1, s8, v1, 1
	buffer_load_dwordx2 v[24:25], v2, s[4:7], 0 offen
	buffer_load_dwordx2 v[26:27], v1, s[4:7], 0 offen
	v_lshrrev_b32_e32 v30, 5, v0
	v_lshlrev_b32_e32 v1, 1, v0
	s_lshl_b32 s4, s20, 8
	s_mul_i32 s8, s28, 0x84
	v_lshlrev_b32_e32 v2, 6, v30
	v_and_b32_e32 v4, 0x1f8, v1
	s_add_i32 s20, s4, s8
	s_mul_i32 s8, s28, 0x86
	s_mov_b32 s15, 0x7060302
	s_mov_b32 s18, 0x5040100
	v_lshlrev_b32_e32 v9, 3, v30
	v_sub_u32_e32 v2, v4, v2
	s_add_i32 s22, s4, s8
	s_mul_i32 s8, s28, 0x82
	v_and_or_b32 v21, v1, 4, v9
	v_and_or_b32 v20, v3, 4, v2
	s_add_i32 s23, s4, s8
	s_mul_i32 s8, s28, 0x44
	s_add_i32 s25, s4, s8
	s_mul_i32 s8, s28, 0x46
	;; [unrolled: 2-line block ×3, first 2 shown]
	s_lshl_b32 s21, s28, 7
	s_add_i32 s27, s4, s8
	s_lshl_b32 s8, s28, 6
	s_add_i32 s24, s4, s21
	v_and_b32_e32 v0, 31, v0
	s_mov_b32 s13, 0
	s_sub_i32 s19, s19, 32
	v_mov_b32_e32 v31, 0
	v_mov_b32_e32 v32, 0
	;; [unrolled: 1-line block ×39, first 2 shown]
	s_waitcnt vmcnt(6)
	v_perm_b32 v4, v8, v6, s15
	v_perm_b32 v2, v7, v5, s15
	;; [unrolled: 1-line block ×4, first 2 shown]
	v_mov_b32_e32 v42, 0
	s_waitcnt vmcnt(4)
	v_perm_b32 v8, v17, v19, s15
	v_perm_b32 v7, v17, v19, s18
	v_lshlrev_b32_e32 v17, 2, v29
	s_waitcnt vmcnt(2)
	v_perm_b32 v12, v23, v14, s15
	v_perm_b32 v10, v22, v13, s15
	;; [unrolled: 1-line block ×4, first 2 shown]
	v_lshl_or_b32 v17, v28, 9, v17
	v_perm_b32 v6, v16, v18, s15
	v_perm_b32 v5, v16, v18, s18
	s_waitcnt vmcnt(0)
	v_perm_b32 v16, v25, v27, s15
	v_perm_b32 v14, v24, v26, s15
	;; [unrolled: 1-line block ×4, first 2 shown]
	ds_write_b128 v17, v[9:12]
	ds_write_b128 v17, v[13:16] offset:512
	ds_write_b128 v17, v[1:4] offset:16384
	v_mul_lo_u32 v1, s28, v30
	s_add_i32 s28, s4, s8
	s_lshl_b32 s4, s30, 8
	s_mul_i32 s8, s38, 0x84
	s_add_i32 s29, s4, s8
	s_mul_i32 s8, s38, 0x86
	v_add_lshl_u32 v1, v1, v0, 3
	s_add_i32 s31, s4, s8
	s_mul_i32 s8, s38, 0x82
	buffer_store_dword v1, off, s[40:43], 0 offset:20 ; 4-byte Folded Spill
	v_mul_lo_u32 v1, s38, v30
	s_add_i32 s33, s4, s8
	s_mul_i32 s8, s38, 0x44
	s_add_i32 s35, s4, s8
	s_mul_i32 s8, s38, 0x46
	;; [unrolled: 2-line block ×3, first 2 shown]
	s_lshl_b32 s30, s38, 7
	s_add_i32 s37, s4, s8
	s_lshl_b32 s8, s38, 6
	buffer_store_dword v17, off, s[40:43], 0 ; 4-byte Folded Spill
	ds_write_b128 v17, v[5:8] offset:16896
	v_lshlrev_b32_e32 v22, 2, v21
	v_lshlrev_b32_e32 v23, 2, v20
	v_add_lshl_u32 v0, v1, v0, 3
	s_add_i32 s34, s4, s30
	s_add_i32 s38, s4, s8
	v_mov_b32_e32 v16, 0
	s_mov_b32 s4, s12
	s_mov_b32 s8, s14
	v_mov_b32_e32 v28, 0
	v_mov_b32_e32 v29, 0
	;; [unrolled: 1-line block ×23, first 2 shown]
	buffer_store_dword v21, off, s[40:43], 0 offset:32 ; 4-byte Folded Spill
	buffer_store_dword v20, off, s[40:43], 0 offset:28 ; 4-byte Folded Spill
	;; [unrolled: 1-line block ×3, first 2 shown]
.LBB2_1:                                ; =>This Inner Loop Header: Depth=1
	buffer_load_dword v25, off, s[40:43], 0 offset:24 ; 4-byte Folded Reload
	buffer_load_dword v24, off, s[40:43], 0 offset:20 ; 4-byte Folded Reload
	s_add_i32 s13, s13, 32
	s_waitcnt vmcnt(1)
	v_add_u32_e32 v0, s38, v25
	buffer_load_dwordx2 v[4:5], v0, s[4:7], 0 offen
	v_add_u32_e32 v0, s37, v25
	buffer_load_dwordx2 v[6:7], v0, s[4:7], 0 offen
	s_add_i32 s37, s37, s30
	s_add_i32 s38, s38, s30
	s_waitcnt vmcnt(0)
	v_perm_b32 v1, v6, v4, s15
	v_perm_b32 v0, v6, v4, s18
	v_add_u32_e32 v4, s36, v25
	buffer_load_dwordx2 v[8:9], v4, s[4:7], 0 offen
	v_add_u32_e32 v4, s35, v25
	buffer_load_dwordx2 v[10:11], v4, s[4:7], 0 offen
	v_perm_b32 v3, v7, v5, s15
	v_perm_b32 v2, v7, v5, s18
	s_add_i32 s35, s35, s30
	s_add_i32 s36, s36, s30
	s_waitcnt vmcnt(0)
	v_perm_b32 v5, v8, v10, s15
	v_perm_b32 v4, v8, v10, s18
	v_add_u32_e32 v8, s28, v24
	buffer_load_dwordx2 v[12:13], v8, s[8:11], 0 offen
	v_add_u32_e32 v8, s27, v24
	buffer_load_dwordx2 v[14:15], v8, s[8:11], 0 offen
	v_perm_b32 v7, v9, v11, s15
	v_perm_b32 v6, v9, v11, s18
	;; [unrolled: 11-line block ×3, first 2 shown]
	s_waitcnt vmcnt(0) lgkmcnt(0)
	s_barrier
	s_add_i32 s25, s25, s21
	s_add_i32 s26, s26, s21
	v_perm_b32 v15, v88, v90, s15
	v_perm_b32 v13, v87, v89, s15
	;; [unrolled: 1-line block ×4, first 2 shown]
	ds_read_b128 v[87:90], v22
	ds_read_b128 v[91:94], v23 offset:16384
	ds_read_b128 v[95:98], v23 offset:16640
	;; [unrolled: 1-line block ×3, first 2 shown]
	s_waitcnt lgkmcnt(2)
	v_dot2_f32_f16 v86, v87, v91, v86
	v_dot2_f32_f16 v85, v87, v92, v85
	;; [unrolled: 1-line block ×16, first 2 shown]
	s_waitcnt lgkmcnt(1)
	v_dot2_f32_f16 v78, v87, v95, v78
	v_dot2_f32_f16 v77, v87, v96, v77
	;; [unrolled: 1-line block ×16, first 2 shown]
	ds_read_b128 v[36:39], v22 offset:512
	s_waitcnt lgkmcnt(1)
	v_dot2_f32_f16 v103, v99, v91, v35
	v_dot2_f32_f16 v104, v99, v92, v34
	;; [unrolled: 1-line block ×16, first 2 shown]
	ds_read_b128 v[28:31], v23 offset:16896
	v_dot2_f32_f16 v91, v99, v95, v27
	v_dot2_f32_f16 v92, v99, v96, v19
	;; [unrolled: 1-line block ×5, first 2 shown]
	ds_read_b128 v[16:19], v23 offset:17152
	ds_read_b128 v[32:35], v22 offset:768
	v_dot2_f32_f16 v40, v100, v96, v40
	v_dot2_f32_f16 v41, v100, v97, v41
	;; [unrolled: 1-line block ×11, first 2 shown]
	s_waitcnt lgkmcnt(2)
	v_dot2_f32_f16 v86, v36, v28, v86
	v_dot2_f32_f16 v85, v36, v29, v85
	;; [unrolled: 1-line block ×16, first 2 shown]
	s_waitcnt lgkmcnt(1)
	v_dot2_f32_f16 v78, v36, v16, v78
	v_dot2_f32_f16 v77, v36, v17, v77
	;; [unrolled: 1-line block ×16, first 2 shown]
	ds_read_b128 v[36:39], v22 offset:1024
	s_waitcnt lgkmcnt(1)
	v_dot2_f32_f16 v95, v32, v28, v103
	v_dot2_f32_f16 v96, v32, v29, v104
	;; [unrolled: 1-line block ×16, first 2 shown]
	ds_read_b128 v[27:30], v23 offset:17408
	v_dot2_f32_f16 v91, v32, v16, v91
	v_dot2_f32_f16 v92, v32, v17, v92
	;; [unrolled: 1-line block ×16, first 2 shown]
	ds_read_b128 v[16:19], v23 offset:17664
	ds_read_b128 v[31:34], v22 offset:1280
	s_waitcnt lgkmcnt(2)
	v_dot2_f32_f16 v86, v36, v27, v86
	v_dot2_f32_f16 v85, v36, v28, v85
	;; [unrolled: 1-line block ×16, first 2 shown]
	s_waitcnt lgkmcnt(1)
	v_dot2_f32_f16 v78, v36, v16, v78
	v_dot2_f32_f16 v77, v36, v17, v77
	;; [unrolled: 1-line block ×16, first 2 shown]
	ds_read_b128 v[35:38], v22 offset:1536
	s_waitcnt lgkmcnt(1)
	v_dot2_f32_f16 v90, v31, v27, v95
	v_dot2_f32_f16 v95, v31, v28, v96
	v_dot2_f32_f16 v96, v31, v29, v97
	v_dot2_f32_f16 v97, v31, v30, v98
	v_dot2_f32_f16 v98, v32, v27, v100
	v_dot2_f32_f16 v100, v32, v28, v101
	v_dot2_f32_f16 v101, v32, v29, v102
	v_dot2_f32_f16 v102, v32, v30, v103
	v_dot2_f32_f16 v59, v33, v27, v59
	v_dot2_f32_f16 v60, v33, v28, v60
	v_dot2_f32_f16 v61, v33, v29, v61
	v_dot2_f32_f16 v62, v33, v30, v62
	v_dot2_f32_f16 v66, v34, v27, v66
	v_dot2_f32_f16 v67, v34, v28, v67
	v_dot2_f32_f16 v68, v34, v29, v68
	v_dot2_f32_f16 v69, v34, v30, v69
	ds_read_b128 v[27:30], v23 offset:17920
	v_dot2_f32_f16 v91, v31, v16, v91
	v_dot2_f32_f16 v92, v31, v17, v92
	;; [unrolled: 1-line block ×16, first 2 shown]
	ds_read_b128 v[16:19], v23 offset:18176
	ds_read_b128 v[31:34], v22 offset:1792
	s_waitcnt lgkmcnt(2)
	v_dot2_f32_f16 v86, v35, v27, v86
	v_dot2_f32_f16 v85, v35, v28, v85
	;; [unrolled: 1-line block ×16, first 2 shown]
	s_waitcnt lgkmcnt(1)
	v_dot2_f32_f16 v78, v35, v16, v78
	v_dot2_f32_f16 v77, v35, v17, v77
	;; [unrolled: 1-line block ×16, first 2 shown]
	ds_read_b128 v[35:38], v22 offset:2048
	s_waitcnt lgkmcnt(1)
	v_dot2_f32_f16 v90, v31, v27, v90
	v_dot2_f32_f16 v95, v31, v28, v95
	v_dot2_f32_f16 v96, v31, v29, v96
	v_dot2_f32_f16 v97, v31, v30, v97
	v_dot2_f32_f16 v98, v32, v27, v98
	v_dot2_f32_f16 v100, v32, v28, v100
	v_dot2_f32_f16 v101, v32, v29, v101
	v_dot2_f32_f16 v102, v32, v30, v102
	v_dot2_f32_f16 v59, v33, v27, v59
	v_dot2_f32_f16 v60, v33, v28, v60
	v_dot2_f32_f16 v61, v33, v29, v61
	v_dot2_f32_f16 v62, v33, v30, v62
	v_dot2_f32_f16 v66, v34, v27, v66
	v_dot2_f32_f16 v67, v34, v28, v67
	v_dot2_f32_f16 v68, v34, v29, v68
	v_dot2_f32_f16 v69, v34, v30, v69
	ds_read_b128 v[27:30], v23 offset:18432
	v_dot2_f32_f16 v91, v31, v16, v91
	v_dot2_f32_f16 v92, v31, v17, v92
	;; [unrolled: 1-line block ×16, first 2 shown]
	ds_read_b128 v[16:19], v23 offset:18688
	ds_read_b128 v[31:34], v22 offset:2304
	s_waitcnt lgkmcnt(2)
	v_dot2_f32_f16 v86, v35, v27, v86
	v_dot2_f32_f16 v85, v35, v28, v85
	;; [unrolled: 1-line block ×16, first 2 shown]
	s_waitcnt lgkmcnt(1)
	v_dot2_f32_f16 v78, v35, v16, v78
	v_dot2_f32_f16 v77, v35, v17, v77
	;; [unrolled: 1-line block ×16, first 2 shown]
	ds_read_b128 v[35:38], v22 offset:2560
	s_waitcnt lgkmcnt(1)
	v_dot2_f32_f16 v90, v31, v27, v90
	v_dot2_f32_f16 v95, v31, v28, v95
	;; [unrolled: 1-line block ×16, first 2 shown]
	ds_read_b128 v[27:30], v23 offset:18944
	v_dot2_f32_f16 v91, v31, v16, v91
	v_dot2_f32_f16 v92, v31, v17, v92
	;; [unrolled: 1-line block ×16, first 2 shown]
	ds_read_b128 v[16:19], v23 offset:19200
	ds_read_b128 v[31:34], v22 offset:2816
	s_waitcnt lgkmcnt(2)
	v_dot2_f32_f16 v86, v35, v27, v86
	v_dot2_f32_f16 v85, v35, v28, v85
	;; [unrolled: 1-line block ×16, first 2 shown]
	s_waitcnt lgkmcnt(1)
	v_dot2_f32_f16 v78, v35, v16, v78
	v_dot2_f32_f16 v77, v35, v17, v77
	;; [unrolled: 1-line block ×16, first 2 shown]
	ds_read_b128 v[35:38], v22 offset:3072
	s_waitcnt lgkmcnt(1)
	v_dot2_f32_f16 v90, v31, v27, v90
	v_dot2_f32_f16 v95, v31, v28, v95
	;; [unrolled: 1-line block ×16, first 2 shown]
	ds_read_b128 v[27:30], v23 offset:19456
	v_dot2_f32_f16 v91, v31, v16, v91
	v_dot2_f32_f16 v92, v31, v17, v92
	v_dot2_f32_f16 v93, v31, v18, v93
	v_dot2_f32_f16 v94, v31, v19, v94
	v_dot2_f32_f16 v99, v32, v16, v99
	v_dot2_f32_f16 v40, v32, v17, v40
	v_dot2_f32_f16 v41, v32, v18, v41
	v_dot2_f32_f16 v42, v32, v19, v42
	v_dot2_f32_f16 v43, v33, v16, v43
	v_dot2_f32_f16 v44, v33, v17, v44
	v_dot2_f32_f16 v45, v33, v18, v45
	v_dot2_f32_f16 v46, v33, v19, v46
	v_dot2_f32_f16 v49, v34, v16, v49
	v_dot2_f32_f16 v50, v34, v17, v50
	v_dot2_f32_f16 v51, v34, v18, v51
	v_dot2_f32_f16 v52, v34, v19, v52
	ds_read_b128 v[16:19], v23 offset:19712
	ds_read_b128 v[31:34], v22 offset:3328
	s_waitcnt lgkmcnt(2)
	v_dot2_f32_f16 v86, v35, v27, v86
	v_dot2_f32_f16 v85, v35, v28, v85
	v_dot2_f32_f16 v84, v35, v29, v84
	v_dot2_f32_f16 v83, v35, v30, v83
	v_dot2_f32_f16 v82, v36, v27, v82
	v_dot2_f32_f16 v81, v36, v28, v81
	v_dot2_f32_f16 v80, v36, v29, v80
	v_dot2_f32_f16 v79, v36, v30, v79
	v_dot2_f32_f16 v75, v37, v27, v75
	v_dot2_f32_f16 v73, v37, v28, v73
	v_dot2_f32_f16 v72, v37, v29, v72
	v_dot2_f32_f16 v71, v37, v30, v71
	v_dot2_f32_f16 v63, v38, v27, v63
	v_dot2_f32_f16 v57, v38, v28, v57
	v_dot2_f32_f16 v56, v38, v29, v56
	v_dot2_f32_f16 v55, v38, v30, v55
	s_waitcnt lgkmcnt(1)
	v_dot2_f32_f16 v78, v35, v16, v78
	v_dot2_f32_f16 v77, v35, v17, v77
	;; [unrolled: 1-line block ×16, first 2 shown]
	ds_read_b128 v[35:38], v22 offset:3584
	s_waitcnt lgkmcnt(1)
	v_dot2_f32_f16 v90, v31, v27, v90
	v_dot2_f32_f16 v95, v31, v28, v95
	;; [unrolled: 1-line block ×16, first 2 shown]
	ds_read_b128 v[27:30], v23 offset:19968
	v_dot2_f32_f16 v91, v31, v16, v91
	v_dot2_f32_f16 v92, v31, v17, v92
	;; [unrolled: 1-line block ×16, first 2 shown]
	ds_read_b128 v[16:19], v23 offset:20224
	ds_read_b128 v[31:34], v22 offset:3840
	s_waitcnt lgkmcnt(2)
	v_dot2_f32_f16 v86, v35, v27, v86
	v_dot2_f32_f16 v85, v35, v28, v85
	;; [unrolled: 1-line block ×16, first 2 shown]
	s_waitcnt lgkmcnt(1)
	v_dot2_f32_f16 v78, v35, v16, v78
	v_dot2_f32_f16 v77, v35, v17, v77
	;; [unrolled: 1-line block ×16, first 2 shown]
	ds_read_b128 v[35:38], v22 offset:4096
	s_waitcnt lgkmcnt(1)
	v_dot2_f32_f16 v90, v31, v27, v90
	v_dot2_f32_f16 v95, v31, v28, v95
	;; [unrolled: 1-line block ×16, first 2 shown]
	ds_read_b128 v[27:30], v23 offset:20480
	v_dot2_f32_f16 v91, v31, v16, v91
	v_dot2_f32_f16 v92, v31, v17, v92
	;; [unrolled: 1-line block ×16, first 2 shown]
	ds_read_b128 v[16:19], v23 offset:20736
	ds_read_b128 v[31:34], v22 offset:4352
	s_waitcnt lgkmcnt(2)
	v_dot2_f32_f16 v86, v35, v27, v86
	v_dot2_f32_f16 v85, v35, v28, v85
	;; [unrolled: 1-line block ×16, first 2 shown]
	s_waitcnt lgkmcnt(1)
	v_dot2_f32_f16 v78, v35, v16, v78
	v_dot2_f32_f16 v77, v35, v17, v77
	;; [unrolled: 1-line block ×16, first 2 shown]
	ds_read_b128 v[35:38], v22 offset:4608
	s_waitcnt lgkmcnt(1)
	v_dot2_f32_f16 v90, v31, v27, v90
	v_dot2_f32_f16 v95, v31, v28, v95
	;; [unrolled: 1-line block ×16, first 2 shown]
	ds_read_b128 v[27:30], v23 offset:20992
	v_dot2_f32_f16 v91, v31, v16, v91
	v_dot2_f32_f16 v92, v31, v17, v92
	v_dot2_f32_f16 v93, v31, v18, v93
	v_dot2_f32_f16 v94, v31, v19, v94
	v_dot2_f32_f16 v99, v32, v16, v99
	v_dot2_f32_f16 v40, v32, v17, v40
	v_dot2_f32_f16 v41, v32, v18, v41
	v_dot2_f32_f16 v42, v32, v19, v42
	v_dot2_f32_f16 v43, v33, v16, v43
	v_dot2_f32_f16 v44, v33, v17, v44
	v_dot2_f32_f16 v45, v33, v18, v45
	v_dot2_f32_f16 v46, v33, v19, v46
	v_dot2_f32_f16 v49, v34, v16, v49
	v_dot2_f32_f16 v50, v34, v17, v50
	v_dot2_f32_f16 v51, v34, v18, v51
	v_dot2_f32_f16 v52, v34, v19, v52
	ds_read_b128 v[16:19], v23 offset:21248
	ds_read_b128 v[31:34], v22 offset:4864
	s_waitcnt lgkmcnt(2)
	v_dot2_f32_f16 v86, v35, v27, v86
	v_dot2_f32_f16 v85, v35, v28, v85
	;; [unrolled: 1-line block ×16, first 2 shown]
	s_waitcnt lgkmcnt(1)
	v_dot2_f32_f16 v78, v35, v16, v78
	v_dot2_f32_f16 v77, v35, v17, v77
	;; [unrolled: 1-line block ×16, first 2 shown]
	ds_read_b128 v[35:38], v22 offset:5120
	s_waitcnt lgkmcnt(1)
	v_dot2_f32_f16 v90, v31, v27, v90
	v_dot2_f32_f16 v95, v31, v28, v95
	;; [unrolled: 1-line block ×16, first 2 shown]
	ds_read_b128 v[27:30], v23 offset:21504
	v_dot2_f32_f16 v91, v31, v16, v91
	v_dot2_f32_f16 v92, v31, v17, v92
	;; [unrolled: 1-line block ×16, first 2 shown]
	ds_read_b128 v[16:19], v23 offset:21760
	ds_read_b128 v[31:34], v22 offset:5376
	s_waitcnt lgkmcnt(2)
	v_dot2_f32_f16 v86, v35, v27, v86
	v_dot2_f32_f16 v85, v35, v28, v85
	;; [unrolled: 1-line block ×16, first 2 shown]
	s_waitcnt lgkmcnt(1)
	v_dot2_f32_f16 v78, v35, v16, v78
	v_dot2_f32_f16 v77, v35, v17, v77
	;; [unrolled: 1-line block ×16, first 2 shown]
	ds_read_b128 v[35:38], v22 offset:5632
	s_waitcnt lgkmcnt(1)
	v_dot2_f32_f16 v90, v31, v27, v90
	v_dot2_f32_f16 v95, v31, v28, v95
	;; [unrolled: 1-line block ×16, first 2 shown]
	ds_read_b128 v[27:30], v23 offset:22016
	v_dot2_f32_f16 v91, v31, v16, v91
	v_dot2_f32_f16 v92, v31, v17, v92
	;; [unrolled: 1-line block ×16, first 2 shown]
	ds_read_b128 v[16:19], v23 offset:22272
	ds_read_b128 v[31:34], v22 offset:5888
	s_waitcnt lgkmcnt(2)
	v_dot2_f32_f16 v86, v35, v27, v86
	v_dot2_f32_f16 v85, v35, v28, v85
	;; [unrolled: 1-line block ×16, first 2 shown]
	s_waitcnt lgkmcnt(1)
	v_dot2_f32_f16 v78, v35, v16, v78
	v_dot2_f32_f16 v77, v35, v17, v77
	v_dot2_f32_f16 v76, v35, v18, v76
	v_dot2_f32_f16 v74, v35, v19, v74
	v_dot2_f32_f16 v70, v36, v16, v70
	v_dot2_f32_f16 v65, v36, v17, v65
	v_dot2_f32_f16 v64, v36, v18, v64
	v_dot2_f32_f16 v58, v36, v19, v58
	v_dot2_f32_f16 v54, v37, v16, v54
	v_dot2_f32_f16 v53, v37, v17, v53
	v_dot2_f32_f16 v48, v37, v18, v48
	v_dot2_f32_f16 v47, v37, v19, v47
	v_dot2_f32_f16 v87, v38, v16, v87
	v_dot2_f32_f16 v88, v38, v17, v88
	v_dot2_f32_f16 v89, v38, v18, v89
	v_dot2_f32_f16 v39, v38, v19, v39
	ds_read_b128 v[35:38], v22 offset:6144
	s_waitcnt lgkmcnt(1)
	v_dot2_f32_f16 v90, v31, v27, v90
	v_dot2_f32_f16 v95, v31, v28, v95
	;; [unrolled: 1-line block ×16, first 2 shown]
	ds_read_b128 v[27:30], v23 offset:22528
	v_dot2_f32_f16 v91, v31, v16, v91
	v_dot2_f32_f16 v92, v31, v17, v92
	;; [unrolled: 1-line block ×16, first 2 shown]
	ds_read_b128 v[16:19], v23 offset:22784
	ds_read_b128 v[31:34], v22 offset:6400
	s_waitcnt lgkmcnt(2)
	v_dot2_f32_f16 v86, v35, v27, v86
	v_dot2_f32_f16 v85, v35, v28, v85
	;; [unrolled: 1-line block ×16, first 2 shown]
	s_waitcnt lgkmcnt(1)
	v_dot2_f32_f16 v78, v35, v16, v78
	v_dot2_f32_f16 v77, v35, v17, v77
	;; [unrolled: 1-line block ×16, first 2 shown]
	ds_read_b128 v[35:38], v22 offset:6656
	s_waitcnt lgkmcnt(1)
	v_dot2_f32_f16 v90, v31, v27, v90
	v_dot2_f32_f16 v95, v31, v28, v95
	;; [unrolled: 1-line block ×16, first 2 shown]
	ds_read_b128 v[27:30], v23 offset:23040
	v_dot2_f32_f16 v91, v31, v16, v91
	v_dot2_f32_f16 v92, v31, v17, v92
	;; [unrolled: 1-line block ×16, first 2 shown]
	ds_read_b128 v[16:19], v23 offset:23296
	ds_read_b128 v[31:34], v22 offset:6912
	s_waitcnt lgkmcnt(2)
	v_dot2_f32_f16 v86, v35, v27, v86
	v_dot2_f32_f16 v85, v35, v28, v85
	;; [unrolled: 1-line block ×16, first 2 shown]
	s_waitcnt lgkmcnt(1)
	v_dot2_f32_f16 v78, v35, v16, v78
	v_dot2_f32_f16 v77, v35, v17, v77
	;; [unrolled: 1-line block ×16, first 2 shown]
	ds_read_b128 v[35:38], v22 offset:7168
	s_waitcnt lgkmcnt(1)
	v_dot2_f32_f16 v90, v31, v27, v90
	v_dot2_f32_f16 v95, v31, v28, v95
	;; [unrolled: 1-line block ×16, first 2 shown]
	ds_read_b128 v[27:30], v23 offset:23552
	v_dot2_f32_f16 v91, v31, v16, v91
	v_dot2_f32_f16 v92, v31, v17, v92
	;; [unrolled: 1-line block ×16, first 2 shown]
	ds_read_b128 v[16:19], v23 offset:23808
	ds_read_b128 v[31:34], v22 offset:7424
	s_waitcnt lgkmcnt(2)
	v_dot2_f32_f16 v86, v35, v27, v86
	v_dot2_f32_f16 v85, v35, v28, v85
	;; [unrolled: 1-line block ×16, first 2 shown]
	s_waitcnt lgkmcnt(1)
	v_dot2_f32_f16 v78, v35, v16, v78
	v_dot2_f32_f16 v77, v35, v17, v77
	;; [unrolled: 1-line block ×16, first 2 shown]
	ds_read_b128 v[35:38], v22 offset:7680
	s_waitcnt lgkmcnt(1)
	v_dot2_f32_f16 v111, v31, v27, v90
	v_dot2_f32_f16 v112, v31, v28, v95
	;; [unrolled: 1-line block ×16, first 2 shown]
	ds_read_b128 v[27:30], v23 offset:24064
	v_dot2_f32_f16 v122, v31, v16, v91
	v_dot2_f32_f16 v123, v31, v17, v92
	;; [unrolled: 1-line block ×4, first 2 shown]
	ds_read_b128 v[89:92], v23 offset:24320
	ds_read_b128 v[93:96], v22 offset:7936
	v_dot2_f32_f16 v99, v32, v16, v99
	v_dot2_f32_f16 v126, v33, v16, v43
	;; [unrolled: 1-line block ×3, first 2 shown]
	s_waitcnt lgkmcnt(2)
	v_dot2_f32_f16 v59, v35, v29, v84
	v_dot2_f32_f16 v60, v35, v30, v83
	;; [unrolled: 1-line block ×8, first 2 shown]
	s_waitcnt lgkmcnt(1)
	v_dot2_f32_f16 v81, v37, v89, v54
	v_dot2_f32_f16 v82, v37, v90, v53
	;; [unrolled: 1-line block ×4, first 2 shown]
	s_waitcnt lgkmcnt(0)
	v_dot2_f32_f16 v37, v96, v89, v16
	buffer_load_dword v16, off, s[40:43], 0 ; 4-byte Folded Reload
	s_waitcnt vmcnt(0)
	ds_write_b128 v16, v[0:3] offset:8192
	ds_write_b128 v16, v[4:7] offset:8704
	;; [unrolled: 1-line block ×4, first 2 shown]
	v_add_u32_e32 v0, s34, v25
	buffer_load_dwordx2 v[4:5], v0, s[4:7], 0 offen
	v_add_u32_e32 v0, s33, v25
	buffer_load_dwordx2 v[6:7], v0, s[4:7], 0 offen
	v_dot2_f32_f16 v40, v32, v17, v40
	v_dot2_f32_f16 v127, v33, v17, v44
	;; [unrolled: 1-line block ×60, first 2 shown]
	s_add_i32 s33, s33, s30
	s_add_i32 s34, s34, s30
	s_waitcnt vmcnt(0)
	v_perm_b32 v3, v7, v5, s15
	v_perm_b32 v1, v6, v4, s15
	;; [unrolled: 1-line block ×4, first 2 shown]
	buffer_store_dword v0, off, s[40:43], 0 offset:4 ; 4-byte Folded Spill
	s_nop 0
	buffer_store_dword v1, off, s[40:43], 0 offset:8 ; 4-byte Folded Spill
	buffer_store_dword v2, off, s[40:43], 0 offset:12 ; 4-byte Folded Spill
	;; [unrolled: 1-line block ×3, first 2 shown]
	v_add_u32_e32 v4, s31, v25
	buffer_load_dwordx2 v[8:9], v4, s[4:7], 0 offen
	v_add_u32_e32 v4, s29, v25
	buffer_load_dwordx2 v[10:11], v4, s[4:7], 0 offen
	s_add_i32 s29, s29, s30
	s_add_i32 s31, s31, s30
	s_waitcnt vmcnt(0)
	v_perm_b32 v5, v8, v10, s15
	v_perm_b32 v4, v8, v10, s18
	v_add_u32_e32 v8, s24, v24
	buffer_load_dwordx2 v[12:13], v8, s[8:11], 0 offen
	v_add_u32_e32 v8, s23, v24
	buffer_load_dwordx2 v[14:15], v8, s[8:11], 0 offen
	v_perm_b32 v7, v9, v11, s15
	v_perm_b32 v6, v9, v11, s18
	s_add_i32 s23, s23, s21
	s_add_i32 s24, s24, s21
	s_waitcnt vmcnt(0)
	v_perm_b32 v9, v14, v12, s15
	v_perm_b32 v8, v14, v12, s18
	v_add_u32_e32 v12, s22, v24
	buffer_load_dwordx2 v[16:17], v12, s[8:11], 0 offen
	v_add_u32_e32 v12, s20, v24
	buffer_load_dwordx2 v[89:90], v12, s[8:11], 0 offen
	v_perm_b32 v11, v15, v13, s15
	v_perm_b32 v10, v15, v13, s18
	s_waitcnt vmcnt(0) lgkmcnt(0)
	s_barrier
	s_add_i32 s20, s20, s21
	s_add_i32 s22, s22, s21
	s_cmp_lt_i32 s13, s19
	v_perm_b32 v15, v17, v90, s15
	v_perm_b32 v13, v16, v89, s15
	;; [unrolled: 1-line block ×4, first 2 shown]
	ds_read_b128 v[89:92], v22 offset:8192
	ds_read_b128 v[93:96], v23 offset:24576
	;; [unrolled: 1-line block ×4, first 2 shown]
	s_waitcnt lgkmcnt(2)
	v_dot2_f32_f16 v20, v89, v93, v57
	v_dot2_f32_f16 v21, v89, v94, v58
	;; [unrolled: 1-line block ×16, first 2 shown]
	s_waitcnt lgkmcnt(1)
	v_dot2_f32_f16 v119, v89, v97, v73
	v_dot2_f32_f16 v120, v89, v98, v74
	;; [unrolled: 1-line block ×16, first 2 shown]
	ds_read_b128 v[75:78], v22 offset:8704
	s_waitcnt lgkmcnt(1)
	v_dot2_f32_f16 v59, v101, v93, v41
	v_dot2_f32_f16 v60, v101, v94, v42
	;; [unrolled: 1-line block ×16, first 2 shown]
	ds_read_b128 v[91:94], v23 offset:25088
	v_dot2_f32_f16 v16, v101, v97, v105
	v_dot2_f32_f16 v17, v101, v98, v106
	;; [unrolled: 1-line block ×16, first 2 shown]
	ds_read_b128 v[95:98], v23 offset:25344
	ds_read_b128 v[99:102], v22 offset:8960
	s_waitcnt lgkmcnt(2)
	v_dot2_f32_f16 v27, v75, v91, v20
	v_dot2_f32_f16 v28, v75, v92, v21
	;; [unrolled: 1-line block ×16, first 2 shown]
	s_waitcnt lgkmcnt(1)
	v_dot2_f32_f16 v43, v75, v95, v119
	v_dot2_f32_f16 v44, v75, v96, v120
	;; [unrolled: 1-line block ×16, first 2 shown]
	ds_read_b128 v[103:106], v22 offset:9216
	s_waitcnt lgkmcnt(1)
	v_dot2_f32_f16 v59, v99, v91, v59
	v_dot2_f32_f16 v60, v99, v92, v60
	v_dot2_f32_f16 v61, v99, v93, v61
	v_dot2_f32_f16 v62, v99, v94, v62
	v_dot2_f32_f16 v63, v100, v91, v63
	v_dot2_f32_f16 v64, v100, v92, v64
	v_dot2_f32_f16 v65, v100, v93, v65
	v_dot2_f32_f16 v66, v100, v94, v66
	v_dot2_f32_f16 v67, v101, v91, v67
	v_dot2_f32_f16 v68, v101, v92, v68
	v_dot2_f32_f16 v69, v101, v93, v69
	v_dot2_f32_f16 v70, v101, v94, v70
	v_dot2_f32_f16 v71, v102, v91, v71
	v_dot2_f32_f16 v72, v102, v92, v72
	v_dot2_f32_f16 v73, v102, v93, v73
	v_dot2_f32_f16 v74, v102, v94, v74
	ds_read_b128 v[91:94], v23 offset:25600
	v_dot2_f32_f16 v75, v99, v95, v16
	v_dot2_f32_f16 v76, v99, v96, v17
	;; [unrolled: 1-line block ×16, first 2 shown]
	ds_read_b128 v[16:19], v23 offset:25856
	ds_read_b128 v[95:98], v22 offset:9472
	s_waitcnt lgkmcnt(2)
	v_dot2_f32_f16 v27, v103, v91, v27
	v_dot2_f32_f16 v28, v103, v92, v28
	;; [unrolled: 1-line block ×16, first 2 shown]
	s_waitcnt lgkmcnt(1)
	v_dot2_f32_f16 v43, v103, v16, v43
	v_dot2_f32_f16 v44, v103, v17, v44
	;; [unrolled: 1-line block ×16, first 2 shown]
	ds_read_b128 v[99:102], v22 offset:9728
	s_waitcnt lgkmcnt(1)
	v_dot2_f32_f16 v59, v95, v91, v59
	v_dot2_f32_f16 v60, v95, v92, v60
	;; [unrolled: 1-line block ×16, first 2 shown]
	ds_read_b128 v[91:94], v23 offset:26112
	v_dot2_f32_f16 v75, v95, v16, v75
	v_dot2_f32_f16 v76, v95, v17, v76
	;; [unrolled: 1-line block ×16, first 2 shown]
	ds_read_b128 v[16:19], v23 offset:26368
	ds_read_b128 v[95:98], v22 offset:9984
	s_waitcnt lgkmcnt(2)
	v_dot2_f32_f16 v27, v99, v91, v27
	v_dot2_f32_f16 v28, v99, v92, v28
	;; [unrolled: 1-line block ×16, first 2 shown]
	s_waitcnt lgkmcnt(1)
	v_dot2_f32_f16 v43, v99, v16, v43
	v_dot2_f32_f16 v44, v99, v17, v44
	;; [unrolled: 1-line block ×16, first 2 shown]
	ds_read_b128 v[99:102], v22 offset:10240
	s_waitcnt lgkmcnt(1)
	v_dot2_f32_f16 v59, v95, v91, v59
	v_dot2_f32_f16 v60, v95, v92, v60
	;; [unrolled: 1-line block ×16, first 2 shown]
	ds_read_b128 v[91:94], v23 offset:26624
	v_dot2_f32_f16 v75, v95, v16, v75
	v_dot2_f32_f16 v76, v95, v17, v76
	v_dot2_f32_f16 v77, v95, v18, v77
	v_dot2_f32_f16 v78, v95, v19, v78
	v_dot2_f32_f16 v79, v96, v16, v79
	v_dot2_f32_f16 v80, v96, v17, v80
	v_dot2_f32_f16 v81, v96, v18, v81
	v_dot2_f32_f16 v82, v96, v19, v82
	v_dot2_f32_f16 v83, v97, v16, v83
	v_dot2_f32_f16 v84, v97, v17, v84
	v_dot2_f32_f16 v85, v97, v18, v85
	v_dot2_f32_f16 v86, v97, v19, v86
	v_dot2_f32_f16 v87, v98, v16, v87
	v_dot2_f32_f16 v88, v98, v17, v88
	v_dot2_f32_f16 v89, v98, v18, v89
	v_dot2_f32_f16 v90, v98, v19, v90
	ds_read_b128 v[16:19], v23 offset:26880
	ds_read_b128 v[95:98], v22 offset:10496
	s_waitcnt lgkmcnt(2)
	v_dot2_f32_f16 v27, v99, v91, v27
	v_dot2_f32_f16 v28, v99, v92, v28
	;; [unrolled: 1-line block ×16, first 2 shown]
	s_waitcnt lgkmcnt(1)
	v_dot2_f32_f16 v43, v99, v16, v43
	v_dot2_f32_f16 v44, v99, v17, v44
	;; [unrolled: 1-line block ×16, first 2 shown]
	ds_read_b128 v[99:102], v22 offset:10752
	s_waitcnt lgkmcnt(1)
	v_dot2_f32_f16 v59, v95, v91, v59
	v_dot2_f32_f16 v60, v95, v92, v60
	;; [unrolled: 1-line block ×16, first 2 shown]
	ds_read_b128 v[91:94], v23 offset:27136
	v_dot2_f32_f16 v75, v95, v16, v75
	v_dot2_f32_f16 v76, v95, v17, v76
	;; [unrolled: 1-line block ×16, first 2 shown]
	ds_read_b128 v[16:19], v23 offset:27392
	ds_read_b128 v[95:98], v22 offset:11008
	s_waitcnt lgkmcnt(2)
	v_dot2_f32_f16 v27, v99, v91, v27
	v_dot2_f32_f16 v28, v99, v92, v28
	;; [unrolled: 1-line block ×16, first 2 shown]
	s_waitcnt lgkmcnt(1)
	v_dot2_f32_f16 v43, v99, v16, v43
	v_dot2_f32_f16 v44, v99, v17, v44
	;; [unrolled: 1-line block ×16, first 2 shown]
	ds_read_b128 v[99:102], v22 offset:11264
	s_waitcnt lgkmcnt(1)
	v_dot2_f32_f16 v59, v95, v91, v59
	v_dot2_f32_f16 v60, v95, v92, v60
	v_dot2_f32_f16 v61, v95, v93, v61
	v_dot2_f32_f16 v62, v95, v94, v62
	v_dot2_f32_f16 v63, v96, v91, v63
	v_dot2_f32_f16 v64, v96, v92, v64
	v_dot2_f32_f16 v65, v96, v93, v65
	v_dot2_f32_f16 v66, v96, v94, v66
	v_dot2_f32_f16 v67, v97, v91, v67
	v_dot2_f32_f16 v68, v97, v92, v68
	v_dot2_f32_f16 v69, v97, v93, v69
	v_dot2_f32_f16 v70, v97, v94, v70
	v_dot2_f32_f16 v71, v98, v91, v71
	v_dot2_f32_f16 v72, v98, v92, v72
	v_dot2_f32_f16 v73, v98, v93, v73
	v_dot2_f32_f16 v74, v98, v94, v74
	ds_read_b128 v[91:94], v23 offset:27648
	v_dot2_f32_f16 v75, v95, v16, v75
	v_dot2_f32_f16 v76, v95, v17, v76
	;; [unrolled: 1-line block ×16, first 2 shown]
	ds_read_b128 v[16:19], v23 offset:27904
	ds_read_b128 v[95:98], v22 offset:11520
	s_waitcnt lgkmcnt(2)
	v_dot2_f32_f16 v27, v99, v91, v27
	v_dot2_f32_f16 v28, v99, v92, v28
	;; [unrolled: 1-line block ×16, first 2 shown]
	s_waitcnt lgkmcnt(1)
	v_dot2_f32_f16 v43, v99, v16, v43
	v_dot2_f32_f16 v44, v99, v17, v44
	;; [unrolled: 1-line block ×16, first 2 shown]
	ds_read_b128 v[99:102], v22 offset:11776
	s_waitcnt lgkmcnt(1)
	v_dot2_f32_f16 v59, v95, v91, v59
	v_dot2_f32_f16 v60, v95, v92, v60
	;; [unrolled: 1-line block ×16, first 2 shown]
	ds_read_b128 v[91:94], v23 offset:28160
	v_dot2_f32_f16 v75, v95, v16, v75
	v_dot2_f32_f16 v76, v95, v17, v76
	;; [unrolled: 1-line block ×16, first 2 shown]
	ds_read_b128 v[16:19], v23 offset:28416
	ds_read_b128 v[95:98], v22 offset:12032
	s_waitcnt lgkmcnt(2)
	v_dot2_f32_f16 v27, v99, v91, v27
	v_dot2_f32_f16 v28, v99, v92, v28
	v_dot2_f32_f16 v29, v99, v93, v29
	v_dot2_f32_f16 v30, v99, v94, v30
	v_dot2_f32_f16 v31, v100, v91, v31
	v_dot2_f32_f16 v32, v100, v92, v32
	v_dot2_f32_f16 v33, v100, v93, v33
	v_dot2_f32_f16 v34, v100, v94, v34
	v_dot2_f32_f16 v35, v101, v91, v35
	v_dot2_f32_f16 v36, v101, v92, v36
	v_dot2_f32_f16 v37, v101, v93, v37
	v_dot2_f32_f16 v38, v101, v94, v38
	v_dot2_f32_f16 v39, v102, v91, v39
	v_dot2_f32_f16 v40, v102, v92, v40
	v_dot2_f32_f16 v41, v102, v93, v41
	v_dot2_f32_f16 v42, v102, v94, v42
	s_waitcnt lgkmcnt(1)
	v_dot2_f32_f16 v43, v99, v16, v43
	v_dot2_f32_f16 v44, v99, v17, v44
	v_dot2_f32_f16 v45, v99, v18, v45
	v_dot2_f32_f16 v46, v99, v19, v46
	v_dot2_f32_f16 v47, v100, v16, v47
	v_dot2_f32_f16 v48, v100, v17, v48
	v_dot2_f32_f16 v49, v100, v18, v49
	v_dot2_f32_f16 v50, v100, v19, v50
	v_dot2_f32_f16 v51, v101, v16, v51
	v_dot2_f32_f16 v52, v101, v17, v52
	v_dot2_f32_f16 v53, v101, v18, v53
	v_dot2_f32_f16 v54, v101, v19, v54
	v_dot2_f32_f16 v55, v102, v16, v55
	v_dot2_f32_f16 v56, v102, v17, v56
	v_dot2_f32_f16 v57, v102, v18, v57
	v_dot2_f32_f16 v58, v102, v19, v58
	ds_read_b128 v[99:102], v22 offset:12288
	s_waitcnt lgkmcnt(1)
	v_dot2_f32_f16 v59, v95, v91, v59
	v_dot2_f32_f16 v60, v95, v92, v60
	;; [unrolled: 1-line block ×16, first 2 shown]
	ds_read_b128 v[91:94], v23 offset:28672
	v_dot2_f32_f16 v75, v95, v16, v75
	v_dot2_f32_f16 v76, v95, v17, v76
	;; [unrolled: 1-line block ×16, first 2 shown]
	ds_read_b128 v[16:19], v23 offset:28928
	ds_read_b128 v[95:98], v22 offset:12544
	s_waitcnt lgkmcnt(2)
	v_dot2_f32_f16 v27, v99, v91, v27
	v_dot2_f32_f16 v28, v99, v92, v28
	;; [unrolled: 1-line block ×16, first 2 shown]
	s_waitcnt lgkmcnt(1)
	v_dot2_f32_f16 v43, v99, v16, v43
	v_dot2_f32_f16 v44, v99, v17, v44
	;; [unrolled: 1-line block ×16, first 2 shown]
	ds_read_b128 v[99:102], v22 offset:12800
	s_waitcnt lgkmcnt(1)
	v_dot2_f32_f16 v59, v95, v91, v59
	v_dot2_f32_f16 v60, v95, v92, v60
	;; [unrolled: 1-line block ×16, first 2 shown]
	ds_read_b128 v[91:94], v23 offset:29184
	v_dot2_f32_f16 v75, v95, v16, v75
	v_dot2_f32_f16 v76, v95, v17, v76
	;; [unrolled: 1-line block ×16, first 2 shown]
	ds_read_b128 v[16:19], v23 offset:29440
	ds_read_b128 v[95:98], v22 offset:13056
	s_waitcnt lgkmcnt(2)
	v_dot2_f32_f16 v27, v99, v91, v27
	v_dot2_f32_f16 v28, v99, v92, v28
	v_dot2_f32_f16 v29, v99, v93, v29
	v_dot2_f32_f16 v30, v99, v94, v30
	v_dot2_f32_f16 v31, v100, v91, v31
	v_dot2_f32_f16 v32, v100, v92, v32
	v_dot2_f32_f16 v33, v100, v93, v33
	v_dot2_f32_f16 v34, v100, v94, v34
	v_dot2_f32_f16 v35, v101, v91, v35
	v_dot2_f32_f16 v36, v101, v92, v36
	v_dot2_f32_f16 v37, v101, v93, v37
	v_dot2_f32_f16 v38, v101, v94, v38
	v_dot2_f32_f16 v39, v102, v91, v39
	v_dot2_f32_f16 v40, v102, v92, v40
	v_dot2_f32_f16 v41, v102, v93, v41
	v_dot2_f32_f16 v42, v102, v94, v42
	s_waitcnt lgkmcnt(1)
	v_dot2_f32_f16 v43, v99, v16, v43
	v_dot2_f32_f16 v44, v99, v17, v44
	;; [unrolled: 1-line block ×16, first 2 shown]
	ds_read_b128 v[99:102], v22 offset:13312
	s_waitcnt lgkmcnt(1)
	v_dot2_f32_f16 v59, v95, v91, v59
	v_dot2_f32_f16 v60, v95, v92, v60
	;; [unrolled: 1-line block ×16, first 2 shown]
	ds_read_b128 v[91:94], v23 offset:29696
	v_dot2_f32_f16 v75, v95, v16, v75
	v_dot2_f32_f16 v76, v95, v17, v76
	;; [unrolled: 1-line block ×16, first 2 shown]
	ds_read_b128 v[16:19], v23 offset:29952
	ds_read_b128 v[95:98], v22 offset:13568
	s_waitcnt lgkmcnt(2)
	v_dot2_f32_f16 v27, v99, v91, v27
	v_dot2_f32_f16 v28, v99, v92, v28
	;; [unrolled: 1-line block ×16, first 2 shown]
	s_waitcnt lgkmcnt(1)
	v_dot2_f32_f16 v43, v99, v16, v43
	v_dot2_f32_f16 v44, v99, v17, v44
	;; [unrolled: 1-line block ×16, first 2 shown]
	ds_read_b128 v[99:102], v22 offset:13824
	s_waitcnt lgkmcnt(1)
	v_dot2_f32_f16 v59, v95, v91, v59
	v_dot2_f32_f16 v60, v95, v92, v60
	;; [unrolled: 1-line block ×16, first 2 shown]
	ds_read_b128 v[91:94], v23 offset:30208
	v_dot2_f32_f16 v75, v95, v16, v75
	v_dot2_f32_f16 v76, v95, v17, v76
	;; [unrolled: 1-line block ×16, first 2 shown]
	ds_read_b128 v[16:19], v23 offset:30464
	ds_read_b128 v[95:98], v22 offset:14080
	s_waitcnt lgkmcnt(2)
	v_dot2_f32_f16 v27, v99, v91, v27
	v_dot2_f32_f16 v28, v99, v92, v28
	;; [unrolled: 1-line block ×16, first 2 shown]
	s_waitcnt lgkmcnt(1)
	v_dot2_f32_f16 v43, v99, v16, v43
	v_dot2_f32_f16 v44, v99, v17, v44
	;; [unrolled: 1-line block ×16, first 2 shown]
	ds_read_b128 v[99:102], v22 offset:14336
	s_waitcnt lgkmcnt(1)
	v_dot2_f32_f16 v59, v95, v91, v59
	v_dot2_f32_f16 v60, v95, v92, v60
	;; [unrolled: 1-line block ×16, first 2 shown]
	ds_read_b128 v[91:94], v23 offset:30720
	v_dot2_f32_f16 v75, v95, v16, v75
	v_dot2_f32_f16 v76, v95, v17, v76
	;; [unrolled: 1-line block ×16, first 2 shown]
	ds_read_b128 v[16:19], v23 offset:30976
	ds_read_b128 v[95:98], v22 offset:14592
	s_waitcnt lgkmcnt(2)
	v_dot2_f32_f16 v27, v99, v91, v27
	v_dot2_f32_f16 v28, v99, v92, v28
	v_dot2_f32_f16 v29, v99, v93, v29
	v_dot2_f32_f16 v30, v99, v94, v30
	v_dot2_f32_f16 v31, v100, v91, v31
	v_dot2_f32_f16 v32, v100, v92, v32
	v_dot2_f32_f16 v33, v100, v93, v33
	v_dot2_f32_f16 v34, v100, v94, v34
	v_dot2_f32_f16 v35, v101, v91, v35
	v_dot2_f32_f16 v36, v101, v92, v36
	v_dot2_f32_f16 v37, v101, v93, v37
	v_dot2_f32_f16 v38, v101, v94, v38
	v_dot2_f32_f16 v39, v102, v91, v39
	v_dot2_f32_f16 v40, v102, v92, v40
	v_dot2_f32_f16 v41, v102, v93, v41
	v_dot2_f32_f16 v42, v102, v94, v42
	s_waitcnt lgkmcnt(1)
	v_dot2_f32_f16 v43, v99, v16, v43
	v_dot2_f32_f16 v44, v99, v17, v44
	;; [unrolled: 1-line block ×16, first 2 shown]
	ds_read_b128 v[99:102], v22 offset:14848
	s_waitcnt lgkmcnt(1)
	v_dot2_f32_f16 v59, v95, v91, v59
	v_dot2_f32_f16 v60, v95, v92, v60
	;; [unrolled: 1-line block ×16, first 2 shown]
	ds_read_b128 v[91:94], v23 offset:31232
	v_dot2_f32_f16 v75, v95, v16, v75
	v_dot2_f32_f16 v76, v95, v17, v76
	;; [unrolled: 1-line block ×16, first 2 shown]
	ds_read_b128 v[16:19], v23 offset:31488
	ds_read_b128 v[95:98], v22 offset:15104
	s_waitcnt lgkmcnt(2)
	v_dot2_f32_f16 v27, v99, v91, v27
	v_dot2_f32_f16 v28, v99, v92, v28
	;; [unrolled: 1-line block ×16, first 2 shown]
	s_waitcnt lgkmcnt(1)
	v_dot2_f32_f16 v43, v99, v16, v43
	v_dot2_f32_f16 v44, v99, v17, v44
	;; [unrolled: 1-line block ×16, first 2 shown]
	ds_read_b128 v[99:102], v22 offset:15360
	s_waitcnt lgkmcnt(1)
	v_dot2_f32_f16 v59, v95, v91, v59
	v_dot2_f32_f16 v60, v95, v92, v60
	;; [unrolled: 1-line block ×16, first 2 shown]
	ds_read_b128 v[91:94], v23 offset:31744
	v_dot2_f32_f16 v0, v95, v16, v75
	v_dot2_f32_f16 v1, v95, v17, v76
	;; [unrolled: 1-line block ×16, first 2 shown]
	ds_read_b128 v[16:19], v23 offset:32000
	ds_read_b128 v[75:78], v22 offset:15616
	s_waitcnt lgkmcnt(2)
	v_dot2_f32_f16 v86, v99, v91, v27
	v_dot2_f32_f16 v95, v99, v92, v28
	;; [unrolled: 1-line block ×11, first 2 shown]
	s_waitcnt lgkmcnt(1)
	v_dot2_f32_f16 v105, v99, v16, v43
	v_dot2_f32_f16 v44, v99, v17, v44
	;; [unrolled: 1-line block ×10, first 2 shown]
	ds_read_b128 v[27:30], v22 offset:15872
	ds_read_b128 v[40:43], v23 offset:32256
	;; [unrolled: 1-line block ×4, first 2 shown]
	v_dot2_f32_f16 v35, v101, v91, v35
	v_dot2_f32_f16 v36, v101, v92, v36
	v_dot2_f32_f16 v37, v101, v93, v37
	v_dot2_f32_f16 v38, v101, v94, v38
	v_dot2_f32_f16 v39, v102, v91, v39
	v_dot2_f32_f16 v108, v101, v18, v53
	v_dot2_f32_f16 v101, v101, v19, v54
	v_dot2_f32_f16 v109, v102, v16, v55
	v_dot2_f32_f16 v110, v102, v17, v56
	v_dot2_f32_f16 v111, v102, v18, v57
	v_dot2_f32_f16 v102, v102, v19, v58
	s_waitcnt lgkmcnt(4)
	v_dot2_f32_f16 v59, v75, v91, v59
	v_dot2_f32_f16 v60, v75, v92, v60
	;; [unrolled: 1-line block ×32, first 2 shown]
	s_waitcnt lgkmcnt(2)
	v_dot2_f32_f16 v86, v27, v40, v86
	v_dot2_f32_f16 v85, v27, v41, v95
	v_dot2_f32_f16 v84, v27, v42, v96
	v_dot2_f32_f16 v83, v27, v43, v97
	v_dot2_f32_f16 v82, v28, v40, v31
	v_dot2_f32_f16 v81, v28, v41, v32
	v_dot2_f32_f16 v80, v28, v42, v33
	v_dot2_f32_f16 v79, v28, v43, v34
	v_dot2_f32_f16 v75, v29, v40, v35
	v_dot2_f32_f16 v73, v29, v41, v36
	v_dot2_f32_f16 v72, v29, v42, v37
	v_dot2_f32_f16 v71, v29, v43, v38
	v_dot2_f32_f16 v63, v30, v40, v39
	v_dot2_f32_f16 v57, v30, v41, v98
	v_dot2_f32_f16 v56, v30, v42, v103
	v_dot2_f32_f16 v55, v30, v43, v104
	s_waitcnt lgkmcnt(1)
	v_dot2_f32_f16 v78, v27, v49, v105
	v_dot2_f32_f16 v77, v27, v50, v44
	v_dot2_f32_f16 v76, v27, v51, v45
	v_dot2_f32_f16 v74, v27, v52, v46
	v_dot2_f32_f16 v70, v28, v49, v47
	v_dot2_f32_f16 v65, v28, v50, v48
	v_dot2_f32_f16 v64, v28, v51, v99
	v_dot2_f32_f16 v58, v28, v52, v100
	v_dot2_f32_f16 v54, v29, v49, v106
	v_dot2_f32_f16 v53, v29, v50, v107
	v_dot2_f32_f16 v48, v29, v51, v108
	v_dot2_f32_f16 v47, v29, v52, v101
	v_dot2_f32_f16 v39, v30, v49, v109
	v_dot2_f32_f16 v38, v30, v50, v110
	v_dot2_f32_f16 v37, v30, v51, v111
	v_dot2_f32_f16 v36, v30, v52, v102
	;; [unrolled: 17-line block ×3, first 2 shown]
	v_dot2_f32_f16 v27, v87, v49, v0
	v_dot2_f32_f16 v19, v87, v50, v1
	;; [unrolled: 1-line block ×16, first 2 shown]
	buffer_load_dword v0, off, s[40:43], 0  ; 4-byte Folded Reload
	buffer_load_dword v87, off, s[40:43], 0 offset:4 ; 4-byte Folded Reload
	buffer_load_dword v88, off, s[40:43], 0 offset:8 ; 4-byte Folded Reload
	buffer_load_dword v89, off, s[40:43], 0 offset:12 ; 4-byte Folded Reload
	buffer_load_dword v90, off, s[40:43], 0 offset:16 ; 4-byte Folded Reload
	s_waitcnt vmcnt(0)
	ds_write_b128 v0, v[87:90]
	ds_write_b128 v0, v[4:7] offset:512
	ds_write_b128 v0, v[8:11] offset:16384
	;; [unrolled: 1-line block ×3, first 2 shown]
	s_cbranch_scc1 .LBB2_1
; %bb.2:
	s_waitcnt lgkmcnt(0)
	s_barrier
	ds_read_b128 v[0:3], v22
	ds_read_b128 v[4:7], v23 offset:16384
	ds_read_b128 v[8:11], v23 offset:16640
	;; [unrolled: 1-line block ×3, first 2 shown]
	s_lshl_b32 s2, s2, 1
	s_and_b32 s1, s1, 0xffff
	s_waitcnt lgkmcnt(2)
	v_dot2_f32_f16 v20, v0, v4, v86
	v_dot2_f32_f16 v21, v0, v5, v85
	;; [unrolled: 1-line block ×16, first 2 shown]
	s_waitcnt lgkmcnt(1)
	v_dot2_f32_f16 v78, v0, v8, v78
	v_dot2_f32_f16 v77, v0, v9, v77
	;; [unrolled: 1-line block ×16, first 2 shown]
	ds_read_b128 v[0:3], v22 offset:512
	s_waitcnt lgkmcnt(1)
	v_dot2_f32_f16 v35, v12, v4, v35
	v_dot2_f32_f16 v34, v12, v5, v34
	;; [unrolled: 1-line block ×16, first 2 shown]
	ds_read_b128 v[4:7], v23 offset:16896
	v_dot2_f32_f16 v27, v12, v8, v27
	v_dot2_f32_f16 v19, v12, v9, v19
	;; [unrolled: 1-line block ×16, first 2 shown]
	ds_read_b128 v[8:11], v23 offset:17152
	ds_read_b128 v[12:15], v22 offset:768
	s_waitcnt lgkmcnt(2)
	v_dot2_f32_f16 v20, v0, v4, v20
	v_dot2_f32_f16 v21, v0, v5, v21
	;; [unrolled: 1-line block ×16, first 2 shown]
	s_waitcnt lgkmcnt(1)
	v_dot2_f32_f16 v78, v0, v8, v78
	v_dot2_f32_f16 v77, v0, v9, v77
	v_dot2_f32_f16 v76, v0, v10, v76
	v_dot2_f32_f16 v74, v0, v11, v74
	v_dot2_f32_f16 v70, v1, v8, v70
	v_dot2_f32_f16 v65, v1, v9, v65
	v_dot2_f32_f16 v64, v1, v10, v64
	v_dot2_f32_f16 v58, v1, v11, v58
	v_dot2_f32_f16 v54, v2, v8, v54
	v_dot2_f32_f16 v53, v2, v9, v53
	v_dot2_f32_f16 v48, v2, v10, v48
	v_dot2_f32_f16 v47, v2, v11, v47
	v_dot2_f32_f16 v39, v3, v8, v39
	v_dot2_f32_f16 v38, v3, v9, v38
	v_dot2_f32_f16 v37, v3, v10, v37
	v_dot2_f32_f16 v36, v3, v11, v36
	ds_read_b128 v[0:3], v22 offset:1024
	s_waitcnt lgkmcnt(1)
	v_dot2_f32_f16 v35, v12, v4, v35
	v_dot2_f32_f16 v34, v12, v5, v34
	;; [unrolled: 1-line block ×16, first 2 shown]
	ds_read_b128 v[4:7], v23 offset:17408
	v_dot2_f32_f16 v27, v12, v8, v27
	v_dot2_f32_f16 v19, v12, v9, v19
	;; [unrolled: 1-line block ×16, first 2 shown]
	ds_read_b128 v[8:11], v23 offset:17664
	ds_read_b128 v[12:15], v22 offset:1280
	s_waitcnt lgkmcnt(2)
	v_dot2_f32_f16 v20, v0, v4, v20
	v_dot2_f32_f16 v21, v0, v5, v21
	;; [unrolled: 1-line block ×16, first 2 shown]
	s_waitcnt lgkmcnt(1)
	v_dot2_f32_f16 v78, v0, v8, v78
	v_dot2_f32_f16 v77, v0, v9, v77
	;; [unrolled: 1-line block ×16, first 2 shown]
	ds_read_b128 v[0:3], v22 offset:1536
	s_waitcnt lgkmcnt(1)
	v_dot2_f32_f16 v35, v12, v4, v35
	v_dot2_f32_f16 v34, v12, v5, v34
	v_dot2_f32_f16 v33, v12, v6, v33
	v_dot2_f32_f16 v32, v12, v7, v32
	v_dot2_f32_f16 v31, v13, v4, v31
	v_dot2_f32_f16 v30, v13, v5, v30
	v_dot2_f32_f16 v29, v13, v6, v29
	v_dot2_f32_f16 v28, v13, v7, v28
	v_dot2_f32_f16 v59, v14, v4, v59
	v_dot2_f32_f16 v60, v14, v5, v60
	v_dot2_f32_f16 v61, v14, v6, v61
	v_dot2_f32_f16 v62, v14, v7, v62
	v_dot2_f32_f16 v66, v15, v4, v66
	v_dot2_f32_f16 v67, v15, v5, v67
	v_dot2_f32_f16 v68, v15, v6, v68
	v_dot2_f32_f16 v69, v15, v7, v69
	ds_read_b128 v[4:7], v23 offset:17920
	v_dot2_f32_f16 v27, v12, v8, v27
	v_dot2_f32_f16 v19, v12, v9, v19
	;; [unrolled: 1-line block ×16, first 2 shown]
	ds_read_b128 v[8:11], v23 offset:18176
	ds_read_b128 v[12:15], v22 offset:1792
	s_waitcnt lgkmcnt(2)
	v_dot2_f32_f16 v20, v0, v4, v20
	v_dot2_f32_f16 v21, v0, v5, v21
	v_dot2_f32_f16 v24, v0, v6, v24
	v_dot2_f32_f16 v25, v0, v7, v25
	v_dot2_f32_f16 v26, v1, v4, v26
	v_dot2_f32_f16 v81, v1, v5, v81
	v_dot2_f32_f16 v80, v1, v6, v80
	v_dot2_f32_f16 v79, v1, v7, v79
	v_dot2_f32_f16 v75, v2, v4, v75
	v_dot2_f32_f16 v73, v2, v5, v73
	v_dot2_f32_f16 v72, v2, v6, v72
	v_dot2_f32_f16 v71, v2, v7, v71
	v_dot2_f32_f16 v63, v3, v4, v63
	v_dot2_f32_f16 v57, v3, v5, v57
	v_dot2_f32_f16 v56, v3, v6, v56
	v_dot2_f32_f16 v55, v3, v7, v55
	s_waitcnt lgkmcnt(1)
	v_dot2_f32_f16 v78, v0, v8, v78
	v_dot2_f32_f16 v77, v0, v9, v77
	;; [unrolled: 1-line block ×16, first 2 shown]
	ds_read_b128 v[0:3], v22 offset:2048
	s_waitcnt lgkmcnt(1)
	v_dot2_f32_f16 v35, v12, v4, v35
	v_dot2_f32_f16 v34, v12, v5, v34
	;; [unrolled: 1-line block ×16, first 2 shown]
	ds_read_b128 v[4:7], v23 offset:18432
	v_dot2_f32_f16 v27, v12, v8, v27
	v_dot2_f32_f16 v19, v12, v9, v19
	v_dot2_f32_f16 v18, v12, v10, v18
	v_dot2_f32_f16 v17, v12, v11, v17
	v_dot2_f32_f16 v16, v13, v8, v16
	v_dot2_f32_f16 v40, v13, v9, v40
	v_dot2_f32_f16 v41, v13, v10, v41
	v_dot2_f32_f16 v42, v13, v11, v42
	v_dot2_f32_f16 v43, v14, v8, v43
	v_dot2_f32_f16 v44, v14, v9, v44
	v_dot2_f32_f16 v45, v14, v10, v45
	v_dot2_f32_f16 v46, v14, v11, v46
	v_dot2_f32_f16 v49, v15, v8, v49
	v_dot2_f32_f16 v50, v15, v9, v50
	v_dot2_f32_f16 v51, v15, v10, v51
	v_dot2_f32_f16 v52, v15, v11, v52
	ds_read_b128 v[8:11], v23 offset:18688
	ds_read_b128 v[12:15], v22 offset:2304
	s_waitcnt lgkmcnt(2)
	v_dot2_f32_f16 v20, v0, v4, v20
	v_dot2_f32_f16 v21, v0, v5, v21
	v_dot2_f32_f16 v24, v0, v6, v24
	v_dot2_f32_f16 v25, v0, v7, v25
	v_dot2_f32_f16 v26, v1, v4, v26
	v_dot2_f32_f16 v81, v1, v5, v81
	v_dot2_f32_f16 v80, v1, v6, v80
	v_dot2_f32_f16 v79, v1, v7, v79
	v_dot2_f32_f16 v75, v2, v4, v75
	v_dot2_f32_f16 v73, v2, v5, v73
	v_dot2_f32_f16 v72, v2, v6, v72
	v_dot2_f32_f16 v71, v2, v7, v71
	v_dot2_f32_f16 v63, v3, v4, v63
	v_dot2_f32_f16 v57, v3, v5, v57
	v_dot2_f32_f16 v56, v3, v6, v56
	v_dot2_f32_f16 v55, v3, v7, v55
	s_waitcnt lgkmcnt(1)
	v_dot2_f32_f16 v78, v0, v8, v78
	v_dot2_f32_f16 v77, v0, v9, v77
	v_dot2_f32_f16 v76, v0, v10, v76
	v_dot2_f32_f16 v74, v0, v11, v74
	v_dot2_f32_f16 v70, v1, v8, v70
	v_dot2_f32_f16 v65, v1, v9, v65
	v_dot2_f32_f16 v64, v1, v10, v64
	v_dot2_f32_f16 v58, v1, v11, v58
	v_dot2_f32_f16 v54, v2, v8, v54
	v_dot2_f32_f16 v53, v2, v9, v53
	v_dot2_f32_f16 v48, v2, v10, v48
	v_dot2_f32_f16 v47, v2, v11, v47
	v_dot2_f32_f16 v39, v3, v8, v39
	v_dot2_f32_f16 v38, v3, v9, v38
	v_dot2_f32_f16 v37, v3, v10, v37
	v_dot2_f32_f16 v36, v3, v11, v36
	ds_read_b128 v[0:3], v22 offset:2560
	s_waitcnt lgkmcnt(1)
	v_dot2_f32_f16 v35, v12, v4, v35
	v_dot2_f32_f16 v34, v12, v5, v34
	;; [unrolled: 1-line block ×16, first 2 shown]
	ds_read_b128 v[4:7], v23 offset:18944
	v_dot2_f32_f16 v27, v12, v8, v27
	v_dot2_f32_f16 v19, v12, v9, v19
	;; [unrolled: 1-line block ×16, first 2 shown]
	ds_read_b128 v[8:11], v23 offset:19200
	ds_read_b128 v[12:15], v22 offset:2816
	s_waitcnt lgkmcnt(2)
	v_dot2_f32_f16 v20, v0, v4, v20
	v_dot2_f32_f16 v21, v0, v5, v21
	;; [unrolled: 1-line block ×16, first 2 shown]
	s_waitcnt lgkmcnt(1)
	v_dot2_f32_f16 v78, v0, v8, v78
	v_dot2_f32_f16 v77, v0, v9, v77
	;; [unrolled: 1-line block ×16, first 2 shown]
	ds_read_b128 v[0:3], v22 offset:3072
	s_waitcnt lgkmcnt(1)
	v_dot2_f32_f16 v35, v12, v4, v35
	v_dot2_f32_f16 v34, v12, v5, v34
	;; [unrolled: 1-line block ×16, first 2 shown]
	ds_read_b128 v[4:7], v23 offset:19456
	v_dot2_f32_f16 v27, v12, v8, v27
	v_dot2_f32_f16 v19, v12, v9, v19
	;; [unrolled: 1-line block ×16, first 2 shown]
	ds_read_b128 v[8:11], v23 offset:19712
	ds_read_b128 v[12:15], v22 offset:3328
	s_waitcnt lgkmcnt(2)
	v_dot2_f32_f16 v20, v0, v4, v20
	v_dot2_f32_f16 v21, v0, v5, v21
	;; [unrolled: 1-line block ×16, first 2 shown]
	s_waitcnt lgkmcnt(1)
	v_dot2_f32_f16 v78, v0, v8, v78
	v_dot2_f32_f16 v77, v0, v9, v77
	;; [unrolled: 1-line block ×16, first 2 shown]
	ds_read_b128 v[0:3], v22 offset:3584
	s_waitcnt lgkmcnt(1)
	v_dot2_f32_f16 v35, v12, v4, v35
	v_dot2_f32_f16 v34, v12, v5, v34
	;; [unrolled: 1-line block ×16, first 2 shown]
	ds_read_b128 v[4:7], v23 offset:19968
	v_dot2_f32_f16 v27, v12, v8, v27
	v_dot2_f32_f16 v19, v12, v9, v19
	;; [unrolled: 1-line block ×16, first 2 shown]
	ds_read_b128 v[8:11], v23 offset:20224
	ds_read_b128 v[12:15], v22 offset:3840
	s_waitcnt lgkmcnt(2)
	v_dot2_f32_f16 v20, v0, v4, v20
	v_dot2_f32_f16 v21, v0, v5, v21
	;; [unrolled: 1-line block ×16, first 2 shown]
	s_waitcnt lgkmcnt(1)
	v_dot2_f32_f16 v78, v0, v8, v78
	v_dot2_f32_f16 v77, v0, v9, v77
	;; [unrolled: 1-line block ×16, first 2 shown]
	ds_read_b128 v[0:3], v22 offset:4096
	s_waitcnt lgkmcnt(1)
	v_dot2_f32_f16 v35, v12, v4, v35
	v_dot2_f32_f16 v34, v12, v5, v34
	;; [unrolled: 1-line block ×16, first 2 shown]
	ds_read_b128 v[4:7], v23 offset:20480
	v_dot2_f32_f16 v27, v12, v8, v27
	v_dot2_f32_f16 v19, v12, v9, v19
	;; [unrolled: 1-line block ×16, first 2 shown]
	ds_read_b128 v[8:11], v23 offset:20736
	ds_read_b128 v[12:15], v22 offset:4352
	s_waitcnt lgkmcnt(2)
	v_dot2_f32_f16 v20, v0, v4, v20
	v_dot2_f32_f16 v21, v0, v5, v21
	;; [unrolled: 1-line block ×16, first 2 shown]
	s_waitcnt lgkmcnt(1)
	v_dot2_f32_f16 v78, v0, v8, v78
	v_dot2_f32_f16 v77, v0, v9, v77
	;; [unrolled: 1-line block ×16, first 2 shown]
	ds_read_b128 v[0:3], v22 offset:4608
	s_waitcnt lgkmcnt(1)
	v_dot2_f32_f16 v35, v12, v4, v35
	v_dot2_f32_f16 v34, v12, v5, v34
	;; [unrolled: 1-line block ×16, first 2 shown]
	ds_read_b128 v[4:7], v23 offset:20992
	v_dot2_f32_f16 v27, v12, v8, v27
	v_dot2_f32_f16 v19, v12, v9, v19
	;; [unrolled: 1-line block ×16, first 2 shown]
	ds_read_b128 v[8:11], v23 offset:21248
	ds_read_b128 v[12:15], v22 offset:4864
	s_waitcnt lgkmcnt(2)
	v_dot2_f32_f16 v20, v0, v4, v20
	v_dot2_f32_f16 v21, v0, v5, v21
	;; [unrolled: 1-line block ×16, first 2 shown]
	s_waitcnt lgkmcnt(1)
	v_dot2_f32_f16 v78, v0, v8, v78
	v_dot2_f32_f16 v77, v0, v9, v77
	;; [unrolled: 1-line block ×16, first 2 shown]
	ds_read_b128 v[0:3], v22 offset:5120
	s_waitcnt lgkmcnt(1)
	v_dot2_f32_f16 v35, v12, v4, v35
	v_dot2_f32_f16 v34, v12, v5, v34
	;; [unrolled: 1-line block ×16, first 2 shown]
	ds_read_b128 v[4:7], v23 offset:21504
	v_dot2_f32_f16 v27, v12, v8, v27
	v_dot2_f32_f16 v19, v12, v9, v19
	;; [unrolled: 1-line block ×16, first 2 shown]
	ds_read_b128 v[8:11], v23 offset:21760
	ds_read_b128 v[12:15], v22 offset:5376
	s_waitcnt lgkmcnt(2)
	v_dot2_f32_f16 v20, v0, v4, v20
	v_dot2_f32_f16 v21, v0, v5, v21
	;; [unrolled: 1-line block ×16, first 2 shown]
	s_waitcnt lgkmcnt(1)
	v_dot2_f32_f16 v78, v0, v8, v78
	v_dot2_f32_f16 v77, v0, v9, v77
	;; [unrolled: 1-line block ×16, first 2 shown]
	ds_read_b128 v[0:3], v22 offset:5632
	s_waitcnt lgkmcnt(1)
	v_dot2_f32_f16 v35, v12, v4, v35
	v_dot2_f32_f16 v34, v12, v5, v34
	;; [unrolled: 1-line block ×16, first 2 shown]
	ds_read_b128 v[4:7], v23 offset:22016
	v_dot2_f32_f16 v27, v12, v8, v27
	v_dot2_f32_f16 v19, v12, v9, v19
	;; [unrolled: 1-line block ×16, first 2 shown]
	ds_read_b128 v[8:11], v23 offset:22272
	ds_read_b128 v[12:15], v22 offset:5888
	s_waitcnt lgkmcnt(2)
	v_dot2_f32_f16 v20, v0, v4, v20
	v_dot2_f32_f16 v21, v0, v5, v21
	;; [unrolled: 1-line block ×16, first 2 shown]
	s_waitcnt lgkmcnt(1)
	v_dot2_f32_f16 v78, v0, v8, v78
	v_dot2_f32_f16 v77, v0, v9, v77
	v_dot2_f32_f16 v76, v0, v10, v76
	v_dot2_f32_f16 v74, v0, v11, v74
	v_dot2_f32_f16 v70, v1, v8, v70
	v_dot2_f32_f16 v65, v1, v9, v65
	v_dot2_f32_f16 v64, v1, v10, v64
	v_dot2_f32_f16 v58, v1, v11, v58
	v_dot2_f32_f16 v54, v2, v8, v54
	v_dot2_f32_f16 v53, v2, v9, v53
	v_dot2_f32_f16 v48, v2, v10, v48
	v_dot2_f32_f16 v47, v2, v11, v47
	v_dot2_f32_f16 v39, v3, v8, v39
	v_dot2_f32_f16 v38, v3, v9, v38
	v_dot2_f32_f16 v37, v3, v10, v37
	v_dot2_f32_f16 v36, v3, v11, v36
	ds_read_b128 v[0:3], v22 offset:6144
	s_waitcnt lgkmcnt(1)
	v_dot2_f32_f16 v35, v12, v4, v35
	v_dot2_f32_f16 v34, v12, v5, v34
	;; [unrolled: 1-line block ×16, first 2 shown]
	ds_read_b128 v[4:7], v23 offset:22528
	v_dot2_f32_f16 v27, v12, v8, v27
	v_dot2_f32_f16 v19, v12, v9, v19
	;; [unrolled: 1-line block ×16, first 2 shown]
	ds_read_b128 v[8:11], v23 offset:22784
	ds_read_b128 v[12:15], v22 offset:6400
	s_waitcnt lgkmcnt(2)
	v_dot2_f32_f16 v20, v0, v4, v20
	v_dot2_f32_f16 v21, v0, v5, v21
	v_dot2_f32_f16 v24, v0, v6, v24
	v_dot2_f32_f16 v25, v0, v7, v25
	v_dot2_f32_f16 v26, v1, v4, v26
	v_dot2_f32_f16 v81, v1, v5, v81
	v_dot2_f32_f16 v80, v1, v6, v80
	v_dot2_f32_f16 v79, v1, v7, v79
	v_dot2_f32_f16 v75, v2, v4, v75
	v_dot2_f32_f16 v73, v2, v5, v73
	v_dot2_f32_f16 v72, v2, v6, v72
	v_dot2_f32_f16 v71, v2, v7, v71
	v_dot2_f32_f16 v63, v3, v4, v63
	v_dot2_f32_f16 v57, v3, v5, v57
	v_dot2_f32_f16 v56, v3, v6, v56
	v_dot2_f32_f16 v55, v3, v7, v55
	s_waitcnt lgkmcnt(1)
	v_dot2_f32_f16 v78, v0, v8, v78
	v_dot2_f32_f16 v77, v0, v9, v77
	;; [unrolled: 1-line block ×16, first 2 shown]
	ds_read_b128 v[0:3], v22 offset:6656
	s_waitcnt lgkmcnt(1)
	v_dot2_f32_f16 v35, v12, v4, v35
	v_dot2_f32_f16 v34, v12, v5, v34
	;; [unrolled: 1-line block ×16, first 2 shown]
	ds_read_b128 v[4:7], v23 offset:23040
	v_dot2_f32_f16 v27, v12, v8, v27
	v_dot2_f32_f16 v19, v12, v9, v19
	;; [unrolled: 1-line block ×16, first 2 shown]
	ds_read_b128 v[8:11], v23 offset:23296
	ds_read_b128 v[12:15], v22 offset:6912
	s_waitcnt lgkmcnt(2)
	v_dot2_f32_f16 v20, v0, v4, v20
	v_dot2_f32_f16 v21, v0, v5, v21
	;; [unrolled: 1-line block ×16, first 2 shown]
	s_waitcnt lgkmcnt(1)
	v_dot2_f32_f16 v78, v0, v8, v78
	v_dot2_f32_f16 v77, v0, v9, v77
	;; [unrolled: 1-line block ×16, first 2 shown]
	ds_read_b128 v[0:3], v22 offset:7168
	s_waitcnt lgkmcnt(1)
	v_dot2_f32_f16 v35, v12, v4, v35
	v_dot2_f32_f16 v34, v12, v5, v34
	;; [unrolled: 1-line block ×16, first 2 shown]
	ds_read_b128 v[4:7], v23 offset:23552
	v_dot2_f32_f16 v27, v12, v8, v27
	v_dot2_f32_f16 v19, v12, v9, v19
	;; [unrolled: 1-line block ×16, first 2 shown]
	ds_read_b128 v[8:11], v23 offset:23808
	ds_read_b128 v[12:15], v22 offset:7424
	s_waitcnt lgkmcnt(2)
	v_dot2_f32_f16 v20, v0, v4, v20
	v_dot2_f32_f16 v21, v0, v5, v21
	;; [unrolled: 1-line block ×16, first 2 shown]
	s_waitcnt lgkmcnt(1)
	v_dot2_f32_f16 v78, v0, v8, v78
	v_dot2_f32_f16 v77, v0, v9, v77
	;; [unrolled: 1-line block ×16, first 2 shown]
	ds_read_b128 v[0:3], v22 offset:7680
	s_waitcnt lgkmcnt(1)
	v_dot2_f32_f16 v35, v12, v4, v35
	v_dot2_f32_f16 v34, v12, v5, v34
	;; [unrolled: 1-line block ×16, first 2 shown]
	ds_read_b128 v[4:7], v23 offset:24064
	v_dot2_f32_f16 v27, v12, v8, v27
	v_dot2_f32_f16 v19, v12, v9, v19
	;; [unrolled: 1-line block ×16, first 2 shown]
	ds_read_b128 v[8:11], v23 offset:24320
	ds_read_b128 v[12:15], v22 offset:7936
	s_waitcnt lgkmcnt(2)
	v_dot2_f32_f16 v20, v0, v4, v20
	v_dot2_f32_f16 v21, v0, v5, v21
	;; [unrolled: 1-line block ×4, first 2 shown]
	s_waitcnt lgkmcnt(1)
	v_dot2_f32_f16 v78, v0, v8, v78
	v_dot2_f32_f16 v77, v0, v9, v77
	;; [unrolled: 1-line block ×4, first 2 shown]
	buffer_load_dword v0, off, s[40:43], 0 offset:32 ; 4-byte Folded Reload
	v_dot2_f32_f16 v24, v1, v4, v26
	v_dot2_f32_f16 v25, v1, v5, v81
	;; [unrolled: 1-line block ×24, first 2 shown]
	s_waitcnt lgkmcnt(0)
	v_dot2_f32_f16 v35, v12, v4, v35
	v_dot2_f32_f16 v34, v12, v5, v34
	;; [unrolled: 1-line block ×32, first 2 shown]
	buffer_load_dword v15, off, s[40:43], 0 offset:28 ; 4-byte Folded Reload
	v_cvt_f16_f32_e32 v20, v20
	v_cvt_f16_f32_e32 v1, v22
	;; [unrolled: 1-line block ×6, first 2 shown]
	v_pack_b32_f16 v1, v1, v22
	v_cvt_f16_f32_e32 v22, v76
	v_cvt_f16_f32_e32 v2, v2
	v_cvt_f16_f32_e32 v3, v3
	v_cvt_f16_f32_e32 v4, v4
	v_cvt_f16_f32_e32 v6, v6
	v_cvt_f16_f32_e32 v7, v7
	v_cvt_f16_f32_e32 v5, v5
	s_waitcnt vmcnt(1)
	v_add_u32_e32 v0, s17, v0
	v_mul_lo_u32 v0, v0, s16
	s_waitcnt vmcnt(0)
	v_add3_u32 v15, s3, v15, v0
	v_pack_b32_f16 v0, v20, v21
	v_cvt_f16_f32_e32 v21, v78
	s_mov_b32 s3, 0x20000
	v_lshlrev_b32_e32 v20, 1, v15
	buffer_store_dwordx2 v[0:1], v20, s[0:3], 0 offen
	v_pack_b32_f16 v1, v22, v23
	v_pack_b32_f16 v0, v21, v44
	v_cvt_f16_f32_e32 v21, v70
	v_cvt_f16_f32_e32 v22, v64
	v_cvt_f16_f32_e32 v23, v58
	v_cvt_f16_f32_e32 v44, v65
	v_add_u32_e32 v20, 64, v15
	v_lshlrev_b32_e32 v45, 1, v20
	buffer_store_dwordx2 v[0:1], v45, s[0:3], 0 offen
	v_pack_b32_f16 v1, v22, v23
	v_pack_b32_f16 v0, v21, v44
	v_cvt_f16_f32_e32 v21, v24
	v_cvt_f16_f32_e32 v22, v26
	;; [unrolled: 1-line block ×4, first 2 shown]
	v_add_lshl_u32 v20, v20, s16, 1
	buffer_store_dwordx2 v[0:1], v20, s[0:3], 0 offen
	v_pack_b32_f16 v1, v22, v23
	v_pack_b32_f16 v0, v21, v24
	v_cvt_f16_f32_e32 v21, v75
	v_cvt_f16_f32_e32 v22, v72
	;; [unrolled: 1-line block ×4, first 2 shown]
	v_add_u32_e32 v15, s16, v15
	v_lshlrev_b32_e32 v20, 1, v15
	buffer_store_dwordx2 v[0:1], v20, s[0:3], 0 offen
	v_pack_b32_f16 v1, v22, v23
	v_pack_b32_f16 v0, v21, v24
	v_cvt_f16_f32_e32 v21, v54
	v_cvt_f16_f32_e32 v22, v48
	;; [unrolled: 1-line block ×3, first 2 shown]
	v_add_u32_e32 v15, s16, v15
	v_lshlrev_b32_e32 v20, 1, v15
	buffer_store_dwordx2 v[0:1], v20, s[0:3], 0 offen
	v_pack_b32_f16 v1, v22, v2
	v_pack_b32_f16 v0, v21, v23
	v_cvt_f16_f32_e32 v2, v39
	v_cvt_f16_f32_e32 v21, v37
	;; [unrolled: 1-line block ×3, first 2 shown]
	v_add_u32_e32 v20, 64, v15
	v_lshlrev_b32_e32 v23, 1, v20
	buffer_store_dwordx2 v[0:1], v23, s[0:3], 0 offen
	v_pack_b32_f16 v1, v21, v3
	v_pack_b32_f16 v0, v2, v22
	v_add_lshl_u32 v2, v20, s16, 1
	v_cvt_f16_f32_e32 v3, v63
	v_cvt_f16_f32_e32 v20, v56
	;; [unrolled: 1-line block ×4, first 2 shown]
	buffer_store_dwordx2 v[0:1], v2, s[0:3], 0 offen
	v_add_u32_e32 v2, s16, v15
	v_pack_b32_f16 v1, v20, v21
	v_pack_b32_f16 v0, v3, v22
	v_lshlrev_b32_e32 v3, 1, v2
	buffer_store_dwordx2 v[0:1], v3, s[0:3], 0 offen
	v_pack_b32_f16 v1, v6, v7
	v_pack_b32_f16 v0, v4, v5
	v_cvt_f16_f32_e32 v4, v8
	v_cvt_f16_f32_e32 v5, v10
	;; [unrolled: 1-line block ×4, first 2 shown]
	v_lshl_add_u32 v2, s16, 6, v2
	v_lshlrev_b32_e32 v3, 1, v2
	buffer_store_dwordx2 v[0:1], v3, s[0:3], 0 offen
	v_pack_b32_f16 v1, v5, v6
	v_pack_b32_f16 v0, v4, v7
	v_cvt_f16_f32_e32 v4, v41
	v_cvt_f16_f32_e32 v5, v43
	;; [unrolled: 1-line block ×4, first 2 shown]
	v_add_u32_e32 v2, 64, v2
	v_lshlrev_b32_e32 v3, 1, v2
	buffer_store_dwordx2 v[0:1], v3, s[0:3], 0 offen
	v_pack_b32_f16 v1, v5, v6
	v_pack_b32_f16 v0, v4, v7
	v_cvt_f16_f32_e32 v4, v36
	v_cvt_f16_f32_e32 v5, v59
	v_cvt_f16_f32_e32 v6, v60
	v_cvt_f16_f32_e32 v7, v47
	v_subrev_u32_e32 v2, s16, v2
	v_lshlrev_b32_e32 v3, 1, v2
	buffer_store_dwordx2 v[0:1], v3, s[0:3], 0 offen
	v_pack_b32_f16 v1, v5, v6
	v_pack_b32_f16 v0, v4, v7
	v_cvt_f16_f32_e32 v4, v31
	v_cvt_f16_f32_e32 v5, v29
	v_cvt_f16_f32_e32 v6, v28
	v_cvt_f16_f32_e32 v7, v30
	v_subrev_u32_e32 v2, 64, v2
	;; [unrolled: 9-line block ×3, first 2 shown]
	v_lshlrev_b32_e32 v3, 1, v2
	buffer_store_dwordx2 v[0:1], v3, s[0:3], 0 offen
	v_pack_b32_f16 v1, v5, v6
	v_pack_b32_f16 v0, v4, v7
	v_cvt_f16_f32_e32 v4, v27
	v_cvt_f16_f32_e32 v5, v18
	;; [unrolled: 1-line block ×4, first 2 shown]
	v_add_u32_e32 v2, 64, v2
	v_lshlrev_b32_e32 v3, 1, v2
	buffer_store_dwordx2 v[0:1], v3, s[0:3], 0 offen
	v_pack_b32_f16 v1, v5, v6
	v_pack_b32_f16 v0, v4, v7
	v_cvt_f16_f32_e32 v3, v35
	v_cvt_f16_f32_e32 v4, v33
	v_cvt_f16_f32_e32 v5, v32
	v_cvt_f16_f32_e32 v6, v34
	v_subrev_u32_e32 v2, s16, v2
	v_lshlrev_b32_e32 v2, 1, v2
	buffer_store_dwordx2 v[0:1], v2, s[0:3], 0 offen
	v_pack_b32_f16 v1, v4, v5
	v_pack_b32_f16 v0, v3, v6
	v_add_u32_e32 v2, 0xffffff80, v2
	buffer_store_dwordx2 v[0:1], v2, s[0:3], 0 offen
	s_endpgm
	.section	.rodata,"a",@progbits
	.p2align	6, 0x0
	.amdhsa_kernel _ZN2ck19kernel_gemm_dl_v1r3INS_28GridwiseGemmDl_km_kn_mn_v1r3ILi256EDF16_fDF16_LNS_25InMemoryDataOperationEnumE0ENS_16TensorDescriptorINS_5TupleIJNS_5EmbedINS4_IJiiEEENS4_IJNS_17integral_constantIiLi1EEEiEEELb0EEENS_7UnMergeINS4_IJiNS7_IiLi2EEEEEELb0EEENS_11PassThroughIiEEEEENS4_IJNS_8SequenceIJLi0EEEENSI_IJLi2EEEENSI_IJLi1EEEEEEENS4_IJNSI_IJLi1ELi2EEEENSI_IJLi3ELi4EEEENSI_IJLi5EEEEEEENSI_IJLi3ELi5ELi4EEEElEENS3_INS4_IJNS5_IS6_NS4_IJiS8_EEELb0EEESE_SG_EEENS4_IJSJ_SL_SK_EEESQ_SR_lEENS3_INS4_IJSU_SG_SG_EEESW_NS4_IJSN_NSI_IJLi3EEEENSI_IJLi4EEEEEEESO_lEELi128ELi128ELi16ELi2ELi4ELi4ELi1ENSI_IJLi8ELi2EEEES13_NSI_IJLi2ELi1ELi4ELi2EEEENSI_IJLi8ELi1ELi32ELi1EEEENSI_IJLi0ELi3ELi1ELi2EEEES16_NSI_IJLi1ELi1ELi4ELi1EEEES16_NSI_IJLi1ELi1ELi4ELi2EEEES14_S15_S16_S16_S17_S16_S18_NSI_IJLi0ELi1ELi2ELi3ELi4ELi5EEEELi5ELi4EEEDF16_DF16_NS3_INS4_IJSA_SE_SG_SG_NSB_INS4_IJiNS7_IiLi128EEEEEELb0EEENSF_ISC_EEEEENS4_IJSJ_SK_SL_SZ_SP_S10_EEENS4_IJSN_SO_SP_NSI_IJLi6EEEENSI_IJLi7ELi8EEEENSI_IJLi9EEEEEEENSI_IJLi6ELi7ELi8ELi9EEEElEENS3_INS4_IJSU_SE_SG_SG_S1D_S1E_EEENS4_IJSJ_SL_SK_SZ_SP_S10_EEES1K_S1L_lEENS3_INS4_IJSU_SG_SG_NSB_INS4_IJiSC_NS7_IiLi64EEEEEELb0EEES1S_EEENS4_IJSJ_SL_SK_SZ_S10_EEENS4_IJSN_SZ_S10_NSI_IJLi5ELi6ELi7EEEENSI_IJLi8ELi9ELi10EEEEEEENSI_IJLi5ELi6ELi7ELi8ELi9ELi10EEEElEENS_31BlockToCTileMap_M00_N00_M01_N01ILi128ELi128ES12_Lb0EEELb1ELb0EEEvPKT0_S24_PT1_T2_T3_T4_T5_
		.amdhsa_group_segment_fixed_size 32768
		.amdhsa_private_segment_fixed_size 40
		.amdhsa_kernarg_size 328
		.amdhsa_user_sgpr_count 6
		.amdhsa_user_sgpr_private_segment_buffer 1
		.amdhsa_user_sgpr_dispatch_ptr 0
		.amdhsa_user_sgpr_queue_ptr 0
		.amdhsa_user_sgpr_kernarg_segment_ptr 1
		.amdhsa_user_sgpr_dispatch_id 0
		.amdhsa_user_sgpr_flat_scratch_init 0
		.amdhsa_user_sgpr_private_segment_size 0
		.amdhsa_uses_dynamic_stack 0
		.amdhsa_system_sgpr_private_segment_wavefront_offset 1
		.amdhsa_system_sgpr_workgroup_id_x 1
		.amdhsa_system_sgpr_workgroup_id_y 0
		.amdhsa_system_sgpr_workgroup_id_z 0
		.amdhsa_system_sgpr_workgroup_info 0
		.amdhsa_system_vgpr_workitem_id 0
		.amdhsa_next_free_vgpr 128
		.amdhsa_next_free_sgpr 98
		.amdhsa_reserve_vcc 0
		.amdhsa_reserve_flat_scratch 0
		.amdhsa_float_round_mode_32 0
		.amdhsa_float_round_mode_16_64 0
		.amdhsa_float_denorm_mode_32 3
		.amdhsa_float_denorm_mode_16_64 3
		.amdhsa_dx10_clamp 1
		.amdhsa_ieee_mode 1
		.amdhsa_fp16_overflow 0
		.amdhsa_exception_fp_ieee_invalid_op 0
		.amdhsa_exception_fp_denorm_src 0
		.amdhsa_exception_fp_ieee_div_zero 0
		.amdhsa_exception_fp_ieee_overflow 0
		.amdhsa_exception_fp_ieee_underflow 0
		.amdhsa_exception_fp_ieee_inexact 0
		.amdhsa_exception_int_div_zero 0
	.end_amdhsa_kernel
	.section	.text._ZN2ck19kernel_gemm_dl_v1r3INS_28GridwiseGemmDl_km_kn_mn_v1r3ILi256EDF16_fDF16_LNS_25InMemoryDataOperationEnumE0ENS_16TensorDescriptorINS_5TupleIJNS_5EmbedINS4_IJiiEEENS4_IJNS_17integral_constantIiLi1EEEiEEELb0EEENS_7UnMergeINS4_IJiNS7_IiLi2EEEEEELb0EEENS_11PassThroughIiEEEEENS4_IJNS_8SequenceIJLi0EEEENSI_IJLi2EEEENSI_IJLi1EEEEEEENS4_IJNSI_IJLi1ELi2EEEENSI_IJLi3ELi4EEEENSI_IJLi5EEEEEEENSI_IJLi3ELi5ELi4EEEElEENS3_INS4_IJNS5_IS6_NS4_IJiS8_EEELb0EEESE_SG_EEENS4_IJSJ_SL_SK_EEESQ_SR_lEENS3_INS4_IJSU_SG_SG_EEESW_NS4_IJSN_NSI_IJLi3EEEENSI_IJLi4EEEEEEESO_lEELi128ELi128ELi16ELi2ELi4ELi4ELi1ENSI_IJLi8ELi2EEEES13_NSI_IJLi2ELi1ELi4ELi2EEEENSI_IJLi8ELi1ELi32ELi1EEEENSI_IJLi0ELi3ELi1ELi2EEEES16_NSI_IJLi1ELi1ELi4ELi1EEEES16_NSI_IJLi1ELi1ELi4ELi2EEEES14_S15_S16_S16_S17_S16_S18_NSI_IJLi0ELi1ELi2ELi3ELi4ELi5EEEELi5ELi4EEEDF16_DF16_NS3_INS4_IJSA_SE_SG_SG_NSB_INS4_IJiNS7_IiLi128EEEEEELb0EEENSF_ISC_EEEEENS4_IJSJ_SK_SL_SZ_SP_S10_EEENS4_IJSN_SO_SP_NSI_IJLi6EEEENSI_IJLi7ELi8EEEENSI_IJLi9EEEEEEENSI_IJLi6ELi7ELi8ELi9EEEElEENS3_INS4_IJSU_SE_SG_SG_S1D_S1E_EEENS4_IJSJ_SL_SK_SZ_SP_S10_EEES1K_S1L_lEENS3_INS4_IJSU_SG_SG_NSB_INS4_IJiSC_NS7_IiLi64EEEEEELb0EEES1S_EEENS4_IJSJ_SL_SK_SZ_S10_EEENS4_IJSN_SZ_S10_NSI_IJLi5ELi6ELi7EEEENSI_IJLi8ELi9ELi10EEEEEEENSI_IJLi5ELi6ELi7ELi8ELi9ELi10EEEElEENS_31BlockToCTileMap_M00_N00_M01_N01ILi128ELi128ES12_Lb0EEELb1ELb0EEEvPKT0_S24_PT1_T2_T3_T4_T5_,"axG",@progbits,_ZN2ck19kernel_gemm_dl_v1r3INS_28GridwiseGemmDl_km_kn_mn_v1r3ILi256EDF16_fDF16_LNS_25InMemoryDataOperationEnumE0ENS_16TensorDescriptorINS_5TupleIJNS_5EmbedINS4_IJiiEEENS4_IJNS_17integral_constantIiLi1EEEiEEELb0EEENS_7UnMergeINS4_IJiNS7_IiLi2EEEEEELb0EEENS_11PassThroughIiEEEEENS4_IJNS_8SequenceIJLi0EEEENSI_IJLi2EEEENSI_IJLi1EEEEEEENS4_IJNSI_IJLi1ELi2EEEENSI_IJLi3ELi4EEEENSI_IJLi5EEEEEEENSI_IJLi3ELi5ELi4EEEElEENS3_INS4_IJNS5_IS6_NS4_IJiS8_EEELb0EEESE_SG_EEENS4_IJSJ_SL_SK_EEESQ_SR_lEENS3_INS4_IJSU_SG_SG_EEESW_NS4_IJSN_NSI_IJLi3EEEENSI_IJLi4EEEEEEESO_lEELi128ELi128ELi16ELi2ELi4ELi4ELi1ENSI_IJLi8ELi2EEEES13_NSI_IJLi2ELi1ELi4ELi2EEEENSI_IJLi8ELi1ELi32ELi1EEEENSI_IJLi0ELi3ELi1ELi2EEEES16_NSI_IJLi1ELi1ELi4ELi1EEEES16_NSI_IJLi1ELi1ELi4ELi2EEEES14_S15_S16_S16_S17_S16_S18_NSI_IJLi0ELi1ELi2ELi3ELi4ELi5EEEELi5ELi4EEEDF16_DF16_NS3_INS4_IJSA_SE_SG_SG_NSB_INS4_IJiNS7_IiLi128EEEEEELb0EEENSF_ISC_EEEEENS4_IJSJ_SK_SL_SZ_SP_S10_EEENS4_IJSN_SO_SP_NSI_IJLi6EEEENSI_IJLi7ELi8EEEENSI_IJLi9EEEEEEENSI_IJLi6ELi7ELi8ELi9EEEElEENS3_INS4_IJSU_SE_SG_SG_S1D_S1E_EEENS4_IJSJ_SL_SK_SZ_SP_S10_EEES1K_S1L_lEENS3_INS4_IJSU_SG_SG_NSB_INS4_IJiSC_NS7_IiLi64EEEEEELb0EEES1S_EEENS4_IJSJ_SL_SK_SZ_S10_EEENS4_IJSN_SZ_S10_NSI_IJLi5ELi6ELi7EEEENSI_IJLi8ELi9ELi10EEEEEEENSI_IJLi5ELi6ELi7ELi8ELi9ELi10EEEElEENS_31BlockToCTileMap_M00_N00_M01_N01ILi128ELi128ES12_Lb0EEELb1ELb0EEEvPKT0_S24_PT1_T2_T3_T4_T5_,comdat
.Lfunc_end2:
	.size	_ZN2ck19kernel_gemm_dl_v1r3INS_28GridwiseGemmDl_km_kn_mn_v1r3ILi256EDF16_fDF16_LNS_25InMemoryDataOperationEnumE0ENS_16TensorDescriptorINS_5TupleIJNS_5EmbedINS4_IJiiEEENS4_IJNS_17integral_constantIiLi1EEEiEEELb0EEENS_7UnMergeINS4_IJiNS7_IiLi2EEEEEELb0EEENS_11PassThroughIiEEEEENS4_IJNS_8SequenceIJLi0EEEENSI_IJLi2EEEENSI_IJLi1EEEEEEENS4_IJNSI_IJLi1ELi2EEEENSI_IJLi3ELi4EEEENSI_IJLi5EEEEEEENSI_IJLi3ELi5ELi4EEEElEENS3_INS4_IJNS5_IS6_NS4_IJiS8_EEELb0EEESE_SG_EEENS4_IJSJ_SL_SK_EEESQ_SR_lEENS3_INS4_IJSU_SG_SG_EEESW_NS4_IJSN_NSI_IJLi3EEEENSI_IJLi4EEEEEEESO_lEELi128ELi128ELi16ELi2ELi4ELi4ELi1ENSI_IJLi8ELi2EEEES13_NSI_IJLi2ELi1ELi4ELi2EEEENSI_IJLi8ELi1ELi32ELi1EEEENSI_IJLi0ELi3ELi1ELi2EEEES16_NSI_IJLi1ELi1ELi4ELi1EEEES16_NSI_IJLi1ELi1ELi4ELi2EEEES14_S15_S16_S16_S17_S16_S18_NSI_IJLi0ELi1ELi2ELi3ELi4ELi5EEEELi5ELi4EEEDF16_DF16_NS3_INS4_IJSA_SE_SG_SG_NSB_INS4_IJiNS7_IiLi128EEEEEELb0EEENSF_ISC_EEEEENS4_IJSJ_SK_SL_SZ_SP_S10_EEENS4_IJSN_SO_SP_NSI_IJLi6EEEENSI_IJLi7ELi8EEEENSI_IJLi9EEEEEEENSI_IJLi6ELi7ELi8ELi9EEEElEENS3_INS4_IJSU_SE_SG_SG_S1D_S1E_EEENS4_IJSJ_SL_SK_SZ_SP_S10_EEES1K_S1L_lEENS3_INS4_IJSU_SG_SG_NSB_INS4_IJiSC_NS7_IiLi64EEEEEELb0EEES1S_EEENS4_IJSJ_SL_SK_SZ_S10_EEENS4_IJSN_SZ_S10_NSI_IJLi5ELi6ELi7EEEENSI_IJLi8ELi9ELi10EEEEEEENSI_IJLi5ELi6ELi7ELi8ELi9ELi10EEEElEENS_31BlockToCTileMap_M00_N00_M01_N01ILi128ELi128ES12_Lb0EEELb1ELb0EEEvPKT0_S24_PT1_T2_T3_T4_T5_, .Lfunc_end2-_ZN2ck19kernel_gemm_dl_v1r3INS_28GridwiseGemmDl_km_kn_mn_v1r3ILi256EDF16_fDF16_LNS_25InMemoryDataOperationEnumE0ENS_16TensorDescriptorINS_5TupleIJNS_5EmbedINS4_IJiiEEENS4_IJNS_17integral_constantIiLi1EEEiEEELb0EEENS_7UnMergeINS4_IJiNS7_IiLi2EEEEEELb0EEENS_11PassThroughIiEEEEENS4_IJNS_8SequenceIJLi0EEEENSI_IJLi2EEEENSI_IJLi1EEEEEEENS4_IJNSI_IJLi1ELi2EEEENSI_IJLi3ELi4EEEENSI_IJLi5EEEEEEENSI_IJLi3ELi5ELi4EEEElEENS3_INS4_IJNS5_IS6_NS4_IJiS8_EEELb0EEESE_SG_EEENS4_IJSJ_SL_SK_EEESQ_SR_lEENS3_INS4_IJSU_SG_SG_EEESW_NS4_IJSN_NSI_IJLi3EEEENSI_IJLi4EEEEEEESO_lEELi128ELi128ELi16ELi2ELi4ELi4ELi1ENSI_IJLi8ELi2EEEES13_NSI_IJLi2ELi1ELi4ELi2EEEENSI_IJLi8ELi1ELi32ELi1EEEENSI_IJLi0ELi3ELi1ELi2EEEES16_NSI_IJLi1ELi1ELi4ELi1EEEES16_NSI_IJLi1ELi1ELi4ELi2EEEES14_S15_S16_S16_S17_S16_S18_NSI_IJLi0ELi1ELi2ELi3ELi4ELi5EEEELi5ELi4EEEDF16_DF16_NS3_INS4_IJSA_SE_SG_SG_NSB_INS4_IJiNS7_IiLi128EEEEEELb0EEENSF_ISC_EEEEENS4_IJSJ_SK_SL_SZ_SP_S10_EEENS4_IJSN_SO_SP_NSI_IJLi6EEEENSI_IJLi7ELi8EEEENSI_IJLi9EEEEEEENSI_IJLi6ELi7ELi8ELi9EEEElEENS3_INS4_IJSU_SE_SG_SG_S1D_S1E_EEENS4_IJSJ_SL_SK_SZ_SP_S10_EEES1K_S1L_lEENS3_INS4_IJSU_SG_SG_NSB_INS4_IJiSC_NS7_IiLi64EEEEEELb0EEES1S_EEENS4_IJSJ_SL_SK_SZ_S10_EEENS4_IJSN_SZ_S10_NSI_IJLi5ELi6ELi7EEEENSI_IJLi8ELi9ELi10EEEEEEENSI_IJLi5ELi6ELi7ELi8ELi9ELi10EEEElEENS_31BlockToCTileMap_M00_N00_M01_N01ILi128ELi128ES12_Lb0EEELb1ELb0EEEvPKT0_S24_PT1_T2_T3_T4_T5_
                                        ; -- End function
	.set _ZN2ck19kernel_gemm_dl_v1r3INS_28GridwiseGemmDl_km_kn_mn_v1r3ILi256EDF16_fDF16_LNS_25InMemoryDataOperationEnumE0ENS_16TensorDescriptorINS_5TupleIJNS_5EmbedINS4_IJiiEEENS4_IJNS_17integral_constantIiLi1EEEiEEELb0EEENS_7UnMergeINS4_IJiNS7_IiLi2EEEEEELb0EEENS_11PassThroughIiEEEEENS4_IJNS_8SequenceIJLi0EEEENSI_IJLi2EEEENSI_IJLi1EEEEEEENS4_IJNSI_IJLi1ELi2EEEENSI_IJLi3ELi4EEEENSI_IJLi5EEEEEEENSI_IJLi3ELi5ELi4EEEElEENS3_INS4_IJNS5_IS6_NS4_IJiS8_EEELb0EEESE_SG_EEENS4_IJSJ_SL_SK_EEESQ_SR_lEENS3_INS4_IJSU_SG_SG_EEESW_NS4_IJSN_NSI_IJLi3EEEENSI_IJLi4EEEEEEESO_lEELi128ELi128ELi16ELi2ELi4ELi4ELi1ENSI_IJLi8ELi2EEEES13_NSI_IJLi2ELi1ELi4ELi2EEEENSI_IJLi8ELi1ELi32ELi1EEEENSI_IJLi0ELi3ELi1ELi2EEEES16_NSI_IJLi1ELi1ELi4ELi1EEEES16_NSI_IJLi1ELi1ELi4ELi2EEEES14_S15_S16_S16_S17_S16_S18_NSI_IJLi0ELi1ELi2ELi3ELi4ELi5EEEELi5ELi4EEEDF16_DF16_NS3_INS4_IJSA_SE_SG_SG_NSB_INS4_IJiNS7_IiLi128EEEEEELb0EEENSF_ISC_EEEEENS4_IJSJ_SK_SL_SZ_SP_S10_EEENS4_IJSN_SO_SP_NSI_IJLi6EEEENSI_IJLi7ELi8EEEENSI_IJLi9EEEEEEENSI_IJLi6ELi7ELi8ELi9EEEElEENS3_INS4_IJSU_SE_SG_SG_S1D_S1E_EEENS4_IJSJ_SL_SK_SZ_SP_S10_EEES1K_S1L_lEENS3_INS4_IJSU_SG_SG_NSB_INS4_IJiSC_NS7_IiLi64EEEEEELb0EEES1S_EEENS4_IJSJ_SL_SK_SZ_S10_EEENS4_IJSN_SZ_S10_NSI_IJLi5ELi6ELi7EEEENSI_IJLi8ELi9ELi10EEEEEEENSI_IJLi5ELi6ELi7ELi8ELi9ELi10EEEElEENS_31BlockToCTileMap_M00_N00_M01_N01ILi128ELi128ES12_Lb0EEELb1ELb0EEEvPKT0_S24_PT1_T2_T3_T4_T5_.num_vgpr, 128
	.set _ZN2ck19kernel_gemm_dl_v1r3INS_28GridwiseGemmDl_km_kn_mn_v1r3ILi256EDF16_fDF16_LNS_25InMemoryDataOperationEnumE0ENS_16TensorDescriptorINS_5TupleIJNS_5EmbedINS4_IJiiEEENS4_IJNS_17integral_constantIiLi1EEEiEEELb0EEENS_7UnMergeINS4_IJiNS7_IiLi2EEEEEELb0EEENS_11PassThroughIiEEEEENS4_IJNS_8SequenceIJLi0EEEENSI_IJLi2EEEENSI_IJLi1EEEEEEENS4_IJNSI_IJLi1ELi2EEEENSI_IJLi3ELi4EEEENSI_IJLi5EEEEEEENSI_IJLi3ELi5ELi4EEEElEENS3_INS4_IJNS5_IS6_NS4_IJiS8_EEELb0EEESE_SG_EEENS4_IJSJ_SL_SK_EEESQ_SR_lEENS3_INS4_IJSU_SG_SG_EEESW_NS4_IJSN_NSI_IJLi3EEEENSI_IJLi4EEEEEEESO_lEELi128ELi128ELi16ELi2ELi4ELi4ELi1ENSI_IJLi8ELi2EEEES13_NSI_IJLi2ELi1ELi4ELi2EEEENSI_IJLi8ELi1ELi32ELi1EEEENSI_IJLi0ELi3ELi1ELi2EEEES16_NSI_IJLi1ELi1ELi4ELi1EEEES16_NSI_IJLi1ELi1ELi4ELi2EEEES14_S15_S16_S16_S17_S16_S18_NSI_IJLi0ELi1ELi2ELi3ELi4ELi5EEEELi5ELi4EEEDF16_DF16_NS3_INS4_IJSA_SE_SG_SG_NSB_INS4_IJiNS7_IiLi128EEEEEELb0EEENSF_ISC_EEEEENS4_IJSJ_SK_SL_SZ_SP_S10_EEENS4_IJSN_SO_SP_NSI_IJLi6EEEENSI_IJLi7ELi8EEEENSI_IJLi9EEEEEEENSI_IJLi6ELi7ELi8ELi9EEEElEENS3_INS4_IJSU_SE_SG_SG_S1D_S1E_EEENS4_IJSJ_SL_SK_SZ_SP_S10_EEES1K_S1L_lEENS3_INS4_IJSU_SG_SG_NSB_INS4_IJiSC_NS7_IiLi64EEEEEELb0EEES1S_EEENS4_IJSJ_SL_SK_SZ_S10_EEENS4_IJSN_SZ_S10_NSI_IJLi5ELi6ELi7EEEENSI_IJLi8ELi9ELi10EEEEEEENSI_IJLi5ELi6ELi7ELi8ELi9ELi10EEEElEENS_31BlockToCTileMap_M00_N00_M01_N01ILi128ELi128ES12_Lb0EEELb1ELb0EEEvPKT0_S24_PT1_T2_T3_T4_T5_.num_agpr, 0
	.set _ZN2ck19kernel_gemm_dl_v1r3INS_28GridwiseGemmDl_km_kn_mn_v1r3ILi256EDF16_fDF16_LNS_25InMemoryDataOperationEnumE0ENS_16TensorDescriptorINS_5TupleIJNS_5EmbedINS4_IJiiEEENS4_IJNS_17integral_constantIiLi1EEEiEEELb0EEENS_7UnMergeINS4_IJiNS7_IiLi2EEEEEELb0EEENS_11PassThroughIiEEEEENS4_IJNS_8SequenceIJLi0EEEENSI_IJLi2EEEENSI_IJLi1EEEEEEENS4_IJNSI_IJLi1ELi2EEEENSI_IJLi3ELi4EEEENSI_IJLi5EEEEEEENSI_IJLi3ELi5ELi4EEEElEENS3_INS4_IJNS5_IS6_NS4_IJiS8_EEELb0EEESE_SG_EEENS4_IJSJ_SL_SK_EEESQ_SR_lEENS3_INS4_IJSU_SG_SG_EEESW_NS4_IJSN_NSI_IJLi3EEEENSI_IJLi4EEEEEEESO_lEELi128ELi128ELi16ELi2ELi4ELi4ELi1ENSI_IJLi8ELi2EEEES13_NSI_IJLi2ELi1ELi4ELi2EEEENSI_IJLi8ELi1ELi32ELi1EEEENSI_IJLi0ELi3ELi1ELi2EEEES16_NSI_IJLi1ELi1ELi4ELi1EEEES16_NSI_IJLi1ELi1ELi4ELi2EEEES14_S15_S16_S16_S17_S16_S18_NSI_IJLi0ELi1ELi2ELi3ELi4ELi5EEEELi5ELi4EEEDF16_DF16_NS3_INS4_IJSA_SE_SG_SG_NSB_INS4_IJiNS7_IiLi128EEEEEELb0EEENSF_ISC_EEEEENS4_IJSJ_SK_SL_SZ_SP_S10_EEENS4_IJSN_SO_SP_NSI_IJLi6EEEENSI_IJLi7ELi8EEEENSI_IJLi9EEEEEEENSI_IJLi6ELi7ELi8ELi9EEEElEENS3_INS4_IJSU_SE_SG_SG_S1D_S1E_EEENS4_IJSJ_SL_SK_SZ_SP_S10_EEES1K_S1L_lEENS3_INS4_IJSU_SG_SG_NSB_INS4_IJiSC_NS7_IiLi64EEEEEELb0EEES1S_EEENS4_IJSJ_SL_SK_SZ_S10_EEENS4_IJSN_SZ_S10_NSI_IJLi5ELi6ELi7EEEENSI_IJLi8ELi9ELi10EEEEEEENSI_IJLi5ELi6ELi7ELi8ELi9ELi10EEEElEENS_31BlockToCTileMap_M00_N00_M01_N01ILi128ELi128ES12_Lb0EEELb1ELb0EEEvPKT0_S24_PT1_T2_T3_T4_T5_.numbered_sgpr, 44
	.set _ZN2ck19kernel_gemm_dl_v1r3INS_28GridwiseGemmDl_km_kn_mn_v1r3ILi256EDF16_fDF16_LNS_25InMemoryDataOperationEnumE0ENS_16TensorDescriptorINS_5TupleIJNS_5EmbedINS4_IJiiEEENS4_IJNS_17integral_constantIiLi1EEEiEEELb0EEENS_7UnMergeINS4_IJiNS7_IiLi2EEEEEELb0EEENS_11PassThroughIiEEEEENS4_IJNS_8SequenceIJLi0EEEENSI_IJLi2EEEENSI_IJLi1EEEEEEENS4_IJNSI_IJLi1ELi2EEEENSI_IJLi3ELi4EEEENSI_IJLi5EEEEEEENSI_IJLi3ELi5ELi4EEEElEENS3_INS4_IJNS5_IS6_NS4_IJiS8_EEELb0EEESE_SG_EEENS4_IJSJ_SL_SK_EEESQ_SR_lEENS3_INS4_IJSU_SG_SG_EEESW_NS4_IJSN_NSI_IJLi3EEEENSI_IJLi4EEEEEEESO_lEELi128ELi128ELi16ELi2ELi4ELi4ELi1ENSI_IJLi8ELi2EEEES13_NSI_IJLi2ELi1ELi4ELi2EEEENSI_IJLi8ELi1ELi32ELi1EEEENSI_IJLi0ELi3ELi1ELi2EEEES16_NSI_IJLi1ELi1ELi4ELi1EEEES16_NSI_IJLi1ELi1ELi4ELi2EEEES14_S15_S16_S16_S17_S16_S18_NSI_IJLi0ELi1ELi2ELi3ELi4ELi5EEEELi5ELi4EEEDF16_DF16_NS3_INS4_IJSA_SE_SG_SG_NSB_INS4_IJiNS7_IiLi128EEEEEELb0EEENSF_ISC_EEEEENS4_IJSJ_SK_SL_SZ_SP_S10_EEENS4_IJSN_SO_SP_NSI_IJLi6EEEENSI_IJLi7ELi8EEEENSI_IJLi9EEEEEEENSI_IJLi6ELi7ELi8ELi9EEEElEENS3_INS4_IJSU_SE_SG_SG_S1D_S1E_EEENS4_IJSJ_SL_SK_SZ_SP_S10_EEES1K_S1L_lEENS3_INS4_IJSU_SG_SG_NSB_INS4_IJiSC_NS7_IiLi64EEEEEELb0EEES1S_EEENS4_IJSJ_SL_SK_SZ_S10_EEENS4_IJSN_SZ_S10_NSI_IJLi5ELi6ELi7EEEENSI_IJLi8ELi9ELi10EEEEEEENSI_IJLi5ELi6ELi7ELi8ELi9ELi10EEEElEENS_31BlockToCTileMap_M00_N00_M01_N01ILi128ELi128ES12_Lb0EEELb1ELb0EEEvPKT0_S24_PT1_T2_T3_T4_T5_.num_named_barrier, 0
	.set _ZN2ck19kernel_gemm_dl_v1r3INS_28GridwiseGemmDl_km_kn_mn_v1r3ILi256EDF16_fDF16_LNS_25InMemoryDataOperationEnumE0ENS_16TensorDescriptorINS_5TupleIJNS_5EmbedINS4_IJiiEEENS4_IJNS_17integral_constantIiLi1EEEiEEELb0EEENS_7UnMergeINS4_IJiNS7_IiLi2EEEEEELb0EEENS_11PassThroughIiEEEEENS4_IJNS_8SequenceIJLi0EEEENSI_IJLi2EEEENSI_IJLi1EEEEEEENS4_IJNSI_IJLi1ELi2EEEENSI_IJLi3ELi4EEEENSI_IJLi5EEEEEEENSI_IJLi3ELi5ELi4EEEElEENS3_INS4_IJNS5_IS6_NS4_IJiS8_EEELb0EEESE_SG_EEENS4_IJSJ_SL_SK_EEESQ_SR_lEENS3_INS4_IJSU_SG_SG_EEESW_NS4_IJSN_NSI_IJLi3EEEENSI_IJLi4EEEEEEESO_lEELi128ELi128ELi16ELi2ELi4ELi4ELi1ENSI_IJLi8ELi2EEEES13_NSI_IJLi2ELi1ELi4ELi2EEEENSI_IJLi8ELi1ELi32ELi1EEEENSI_IJLi0ELi3ELi1ELi2EEEES16_NSI_IJLi1ELi1ELi4ELi1EEEES16_NSI_IJLi1ELi1ELi4ELi2EEEES14_S15_S16_S16_S17_S16_S18_NSI_IJLi0ELi1ELi2ELi3ELi4ELi5EEEELi5ELi4EEEDF16_DF16_NS3_INS4_IJSA_SE_SG_SG_NSB_INS4_IJiNS7_IiLi128EEEEEELb0EEENSF_ISC_EEEEENS4_IJSJ_SK_SL_SZ_SP_S10_EEENS4_IJSN_SO_SP_NSI_IJLi6EEEENSI_IJLi7ELi8EEEENSI_IJLi9EEEEEEENSI_IJLi6ELi7ELi8ELi9EEEElEENS3_INS4_IJSU_SE_SG_SG_S1D_S1E_EEENS4_IJSJ_SL_SK_SZ_SP_S10_EEES1K_S1L_lEENS3_INS4_IJSU_SG_SG_NSB_INS4_IJiSC_NS7_IiLi64EEEEEELb0EEES1S_EEENS4_IJSJ_SL_SK_SZ_S10_EEENS4_IJSN_SZ_S10_NSI_IJLi5ELi6ELi7EEEENSI_IJLi8ELi9ELi10EEEEEEENSI_IJLi5ELi6ELi7ELi8ELi9ELi10EEEElEENS_31BlockToCTileMap_M00_N00_M01_N01ILi128ELi128ES12_Lb0EEELb1ELb0EEEvPKT0_S24_PT1_T2_T3_T4_T5_.private_seg_size, 40
	.set _ZN2ck19kernel_gemm_dl_v1r3INS_28GridwiseGemmDl_km_kn_mn_v1r3ILi256EDF16_fDF16_LNS_25InMemoryDataOperationEnumE0ENS_16TensorDescriptorINS_5TupleIJNS_5EmbedINS4_IJiiEEENS4_IJNS_17integral_constantIiLi1EEEiEEELb0EEENS_7UnMergeINS4_IJiNS7_IiLi2EEEEEELb0EEENS_11PassThroughIiEEEEENS4_IJNS_8SequenceIJLi0EEEENSI_IJLi2EEEENSI_IJLi1EEEEEEENS4_IJNSI_IJLi1ELi2EEEENSI_IJLi3ELi4EEEENSI_IJLi5EEEEEEENSI_IJLi3ELi5ELi4EEEElEENS3_INS4_IJNS5_IS6_NS4_IJiS8_EEELb0EEESE_SG_EEENS4_IJSJ_SL_SK_EEESQ_SR_lEENS3_INS4_IJSU_SG_SG_EEESW_NS4_IJSN_NSI_IJLi3EEEENSI_IJLi4EEEEEEESO_lEELi128ELi128ELi16ELi2ELi4ELi4ELi1ENSI_IJLi8ELi2EEEES13_NSI_IJLi2ELi1ELi4ELi2EEEENSI_IJLi8ELi1ELi32ELi1EEEENSI_IJLi0ELi3ELi1ELi2EEEES16_NSI_IJLi1ELi1ELi4ELi1EEEES16_NSI_IJLi1ELi1ELi4ELi2EEEES14_S15_S16_S16_S17_S16_S18_NSI_IJLi0ELi1ELi2ELi3ELi4ELi5EEEELi5ELi4EEEDF16_DF16_NS3_INS4_IJSA_SE_SG_SG_NSB_INS4_IJiNS7_IiLi128EEEEEELb0EEENSF_ISC_EEEEENS4_IJSJ_SK_SL_SZ_SP_S10_EEENS4_IJSN_SO_SP_NSI_IJLi6EEEENSI_IJLi7ELi8EEEENSI_IJLi9EEEEEEENSI_IJLi6ELi7ELi8ELi9EEEElEENS3_INS4_IJSU_SE_SG_SG_S1D_S1E_EEENS4_IJSJ_SL_SK_SZ_SP_S10_EEES1K_S1L_lEENS3_INS4_IJSU_SG_SG_NSB_INS4_IJiSC_NS7_IiLi64EEEEEELb0EEES1S_EEENS4_IJSJ_SL_SK_SZ_S10_EEENS4_IJSN_SZ_S10_NSI_IJLi5ELi6ELi7EEEENSI_IJLi8ELi9ELi10EEEEEEENSI_IJLi5ELi6ELi7ELi8ELi9ELi10EEEElEENS_31BlockToCTileMap_M00_N00_M01_N01ILi128ELi128ES12_Lb0EEELb1ELb0EEEvPKT0_S24_PT1_T2_T3_T4_T5_.uses_vcc, 0
	.set _ZN2ck19kernel_gemm_dl_v1r3INS_28GridwiseGemmDl_km_kn_mn_v1r3ILi256EDF16_fDF16_LNS_25InMemoryDataOperationEnumE0ENS_16TensorDescriptorINS_5TupleIJNS_5EmbedINS4_IJiiEEENS4_IJNS_17integral_constantIiLi1EEEiEEELb0EEENS_7UnMergeINS4_IJiNS7_IiLi2EEEEEELb0EEENS_11PassThroughIiEEEEENS4_IJNS_8SequenceIJLi0EEEENSI_IJLi2EEEENSI_IJLi1EEEEEEENS4_IJNSI_IJLi1ELi2EEEENSI_IJLi3ELi4EEEENSI_IJLi5EEEEEEENSI_IJLi3ELi5ELi4EEEElEENS3_INS4_IJNS5_IS6_NS4_IJiS8_EEELb0EEESE_SG_EEENS4_IJSJ_SL_SK_EEESQ_SR_lEENS3_INS4_IJSU_SG_SG_EEESW_NS4_IJSN_NSI_IJLi3EEEENSI_IJLi4EEEEEEESO_lEELi128ELi128ELi16ELi2ELi4ELi4ELi1ENSI_IJLi8ELi2EEEES13_NSI_IJLi2ELi1ELi4ELi2EEEENSI_IJLi8ELi1ELi32ELi1EEEENSI_IJLi0ELi3ELi1ELi2EEEES16_NSI_IJLi1ELi1ELi4ELi1EEEES16_NSI_IJLi1ELi1ELi4ELi2EEEES14_S15_S16_S16_S17_S16_S18_NSI_IJLi0ELi1ELi2ELi3ELi4ELi5EEEELi5ELi4EEEDF16_DF16_NS3_INS4_IJSA_SE_SG_SG_NSB_INS4_IJiNS7_IiLi128EEEEEELb0EEENSF_ISC_EEEEENS4_IJSJ_SK_SL_SZ_SP_S10_EEENS4_IJSN_SO_SP_NSI_IJLi6EEEENSI_IJLi7ELi8EEEENSI_IJLi9EEEEEEENSI_IJLi6ELi7ELi8ELi9EEEElEENS3_INS4_IJSU_SE_SG_SG_S1D_S1E_EEENS4_IJSJ_SL_SK_SZ_SP_S10_EEES1K_S1L_lEENS3_INS4_IJSU_SG_SG_NSB_INS4_IJiSC_NS7_IiLi64EEEEEELb0EEES1S_EEENS4_IJSJ_SL_SK_SZ_S10_EEENS4_IJSN_SZ_S10_NSI_IJLi5ELi6ELi7EEEENSI_IJLi8ELi9ELi10EEEEEEENSI_IJLi5ELi6ELi7ELi8ELi9ELi10EEEElEENS_31BlockToCTileMap_M00_N00_M01_N01ILi128ELi128ES12_Lb0EEELb1ELb0EEEvPKT0_S24_PT1_T2_T3_T4_T5_.uses_flat_scratch, 0
	.set _ZN2ck19kernel_gemm_dl_v1r3INS_28GridwiseGemmDl_km_kn_mn_v1r3ILi256EDF16_fDF16_LNS_25InMemoryDataOperationEnumE0ENS_16TensorDescriptorINS_5TupleIJNS_5EmbedINS4_IJiiEEENS4_IJNS_17integral_constantIiLi1EEEiEEELb0EEENS_7UnMergeINS4_IJiNS7_IiLi2EEEEEELb0EEENS_11PassThroughIiEEEEENS4_IJNS_8SequenceIJLi0EEEENSI_IJLi2EEEENSI_IJLi1EEEEEEENS4_IJNSI_IJLi1ELi2EEEENSI_IJLi3ELi4EEEENSI_IJLi5EEEEEEENSI_IJLi3ELi5ELi4EEEElEENS3_INS4_IJNS5_IS6_NS4_IJiS8_EEELb0EEESE_SG_EEENS4_IJSJ_SL_SK_EEESQ_SR_lEENS3_INS4_IJSU_SG_SG_EEESW_NS4_IJSN_NSI_IJLi3EEEENSI_IJLi4EEEEEEESO_lEELi128ELi128ELi16ELi2ELi4ELi4ELi1ENSI_IJLi8ELi2EEEES13_NSI_IJLi2ELi1ELi4ELi2EEEENSI_IJLi8ELi1ELi32ELi1EEEENSI_IJLi0ELi3ELi1ELi2EEEES16_NSI_IJLi1ELi1ELi4ELi1EEEES16_NSI_IJLi1ELi1ELi4ELi2EEEES14_S15_S16_S16_S17_S16_S18_NSI_IJLi0ELi1ELi2ELi3ELi4ELi5EEEELi5ELi4EEEDF16_DF16_NS3_INS4_IJSA_SE_SG_SG_NSB_INS4_IJiNS7_IiLi128EEEEEELb0EEENSF_ISC_EEEEENS4_IJSJ_SK_SL_SZ_SP_S10_EEENS4_IJSN_SO_SP_NSI_IJLi6EEEENSI_IJLi7ELi8EEEENSI_IJLi9EEEEEEENSI_IJLi6ELi7ELi8ELi9EEEElEENS3_INS4_IJSU_SE_SG_SG_S1D_S1E_EEENS4_IJSJ_SL_SK_SZ_SP_S10_EEES1K_S1L_lEENS3_INS4_IJSU_SG_SG_NSB_INS4_IJiSC_NS7_IiLi64EEEEEELb0EEES1S_EEENS4_IJSJ_SL_SK_SZ_S10_EEENS4_IJSN_SZ_S10_NSI_IJLi5ELi6ELi7EEEENSI_IJLi8ELi9ELi10EEEEEEENSI_IJLi5ELi6ELi7ELi8ELi9ELi10EEEElEENS_31BlockToCTileMap_M00_N00_M01_N01ILi128ELi128ES12_Lb0EEELb1ELb0EEEvPKT0_S24_PT1_T2_T3_T4_T5_.has_dyn_sized_stack, 0
	.set _ZN2ck19kernel_gemm_dl_v1r3INS_28GridwiseGemmDl_km_kn_mn_v1r3ILi256EDF16_fDF16_LNS_25InMemoryDataOperationEnumE0ENS_16TensorDescriptorINS_5TupleIJNS_5EmbedINS4_IJiiEEENS4_IJNS_17integral_constantIiLi1EEEiEEELb0EEENS_7UnMergeINS4_IJiNS7_IiLi2EEEEEELb0EEENS_11PassThroughIiEEEEENS4_IJNS_8SequenceIJLi0EEEENSI_IJLi2EEEENSI_IJLi1EEEEEEENS4_IJNSI_IJLi1ELi2EEEENSI_IJLi3ELi4EEEENSI_IJLi5EEEEEEENSI_IJLi3ELi5ELi4EEEElEENS3_INS4_IJNS5_IS6_NS4_IJiS8_EEELb0EEESE_SG_EEENS4_IJSJ_SL_SK_EEESQ_SR_lEENS3_INS4_IJSU_SG_SG_EEESW_NS4_IJSN_NSI_IJLi3EEEENSI_IJLi4EEEEEEESO_lEELi128ELi128ELi16ELi2ELi4ELi4ELi1ENSI_IJLi8ELi2EEEES13_NSI_IJLi2ELi1ELi4ELi2EEEENSI_IJLi8ELi1ELi32ELi1EEEENSI_IJLi0ELi3ELi1ELi2EEEES16_NSI_IJLi1ELi1ELi4ELi1EEEES16_NSI_IJLi1ELi1ELi4ELi2EEEES14_S15_S16_S16_S17_S16_S18_NSI_IJLi0ELi1ELi2ELi3ELi4ELi5EEEELi5ELi4EEEDF16_DF16_NS3_INS4_IJSA_SE_SG_SG_NSB_INS4_IJiNS7_IiLi128EEEEEELb0EEENSF_ISC_EEEEENS4_IJSJ_SK_SL_SZ_SP_S10_EEENS4_IJSN_SO_SP_NSI_IJLi6EEEENSI_IJLi7ELi8EEEENSI_IJLi9EEEEEEENSI_IJLi6ELi7ELi8ELi9EEEElEENS3_INS4_IJSU_SE_SG_SG_S1D_S1E_EEENS4_IJSJ_SL_SK_SZ_SP_S10_EEES1K_S1L_lEENS3_INS4_IJSU_SG_SG_NSB_INS4_IJiSC_NS7_IiLi64EEEEEELb0EEES1S_EEENS4_IJSJ_SL_SK_SZ_S10_EEENS4_IJSN_SZ_S10_NSI_IJLi5ELi6ELi7EEEENSI_IJLi8ELi9ELi10EEEEEEENSI_IJLi5ELi6ELi7ELi8ELi9ELi10EEEElEENS_31BlockToCTileMap_M00_N00_M01_N01ILi128ELi128ES12_Lb0EEELb1ELb0EEEvPKT0_S24_PT1_T2_T3_T4_T5_.has_recursion, 0
	.set _ZN2ck19kernel_gemm_dl_v1r3INS_28GridwiseGemmDl_km_kn_mn_v1r3ILi256EDF16_fDF16_LNS_25InMemoryDataOperationEnumE0ENS_16TensorDescriptorINS_5TupleIJNS_5EmbedINS4_IJiiEEENS4_IJNS_17integral_constantIiLi1EEEiEEELb0EEENS_7UnMergeINS4_IJiNS7_IiLi2EEEEEELb0EEENS_11PassThroughIiEEEEENS4_IJNS_8SequenceIJLi0EEEENSI_IJLi2EEEENSI_IJLi1EEEEEEENS4_IJNSI_IJLi1ELi2EEEENSI_IJLi3ELi4EEEENSI_IJLi5EEEEEEENSI_IJLi3ELi5ELi4EEEElEENS3_INS4_IJNS5_IS6_NS4_IJiS8_EEELb0EEESE_SG_EEENS4_IJSJ_SL_SK_EEESQ_SR_lEENS3_INS4_IJSU_SG_SG_EEESW_NS4_IJSN_NSI_IJLi3EEEENSI_IJLi4EEEEEEESO_lEELi128ELi128ELi16ELi2ELi4ELi4ELi1ENSI_IJLi8ELi2EEEES13_NSI_IJLi2ELi1ELi4ELi2EEEENSI_IJLi8ELi1ELi32ELi1EEEENSI_IJLi0ELi3ELi1ELi2EEEES16_NSI_IJLi1ELi1ELi4ELi1EEEES16_NSI_IJLi1ELi1ELi4ELi2EEEES14_S15_S16_S16_S17_S16_S18_NSI_IJLi0ELi1ELi2ELi3ELi4ELi5EEEELi5ELi4EEEDF16_DF16_NS3_INS4_IJSA_SE_SG_SG_NSB_INS4_IJiNS7_IiLi128EEEEEELb0EEENSF_ISC_EEEEENS4_IJSJ_SK_SL_SZ_SP_S10_EEENS4_IJSN_SO_SP_NSI_IJLi6EEEENSI_IJLi7ELi8EEEENSI_IJLi9EEEEEEENSI_IJLi6ELi7ELi8ELi9EEEElEENS3_INS4_IJSU_SE_SG_SG_S1D_S1E_EEENS4_IJSJ_SL_SK_SZ_SP_S10_EEES1K_S1L_lEENS3_INS4_IJSU_SG_SG_NSB_INS4_IJiSC_NS7_IiLi64EEEEEELb0EEES1S_EEENS4_IJSJ_SL_SK_SZ_S10_EEENS4_IJSN_SZ_S10_NSI_IJLi5ELi6ELi7EEEENSI_IJLi8ELi9ELi10EEEEEEENSI_IJLi5ELi6ELi7ELi8ELi9ELi10EEEElEENS_31BlockToCTileMap_M00_N00_M01_N01ILi128ELi128ES12_Lb0EEELb1ELb0EEEvPKT0_S24_PT1_T2_T3_T4_T5_.has_indirect_call, 0
	.section	.AMDGPU.csdata,"",@progbits
; Kernel info:
; codeLenInByte = 29524
; TotalNumSgprs: 48
; NumVgprs: 128
; ScratchSize: 40
; MemoryBound: 0
; FloatMode: 240
; IeeeMode: 1
; LDSByteSize: 32768 bytes/workgroup (compile time only)
; SGPRBlocks: 12
; VGPRBlocks: 31
; NumSGPRsForWavesPerEU: 102
; NumVGPRsForWavesPerEU: 128
; Occupancy: 2
; WaveLimiterHint : 0
; COMPUTE_PGM_RSRC2:SCRATCH_EN: 1
; COMPUTE_PGM_RSRC2:USER_SGPR: 6
; COMPUTE_PGM_RSRC2:TRAP_HANDLER: 0
; COMPUTE_PGM_RSRC2:TGID_X_EN: 1
; COMPUTE_PGM_RSRC2:TGID_Y_EN: 0
; COMPUTE_PGM_RSRC2:TGID_Z_EN: 0
; COMPUTE_PGM_RSRC2:TIDIG_COMP_CNT: 0
	.section	.text._ZN2ck19kernel_gemm_dl_v1r3INS_28GridwiseGemmDl_km_kn_mn_v1r3ILi256EDF16_fDF16_LNS_25InMemoryDataOperationEnumE0ENS_16TensorDescriptorINS_5TupleIJNS_5EmbedINS4_IJiiEEENS4_IJNS_17integral_constantIiLi1EEEiEEELb0EEENS_7UnMergeINS4_IJiNS7_IiLi2EEEEEELb0EEENS_11PassThroughIiEEEEENS4_IJNS_8SequenceIJLi0EEEENSI_IJLi2EEEENSI_IJLi1EEEEEEENS4_IJNSI_IJLi1ELi2EEEENSI_IJLi3ELi4EEEENSI_IJLi5EEEEEEENSI_IJLi3ELi5ELi4EEEElEENS3_INS4_IJNS5_IS6_NS4_IJiS8_EEELb0EEESE_SG_EEENS4_IJSJ_SL_SK_EEESQ_SR_lEENS3_INS4_IJSU_SG_SG_EEESW_NS4_IJSN_NSI_IJLi3EEEENSI_IJLi4EEEEEEESO_lEELi128ELi128ELi16ELi2ELi4ELi4ELi1ENSI_IJLi8ELi2EEEES13_NSI_IJLi2ELi1ELi4ELi2EEEENSI_IJLi8ELi1ELi32ELi1EEEENSI_IJLi0ELi3ELi1ELi2EEEES16_NSI_IJLi1ELi1ELi4ELi1EEEES16_NSI_IJLi1ELi1ELi4ELi2EEEES14_S15_S16_S16_S17_S16_S18_NSI_IJLi0ELi1ELi2ELi3ELi4ELi5EEEELi5ELi4EEEDF16_DF16_NS3_INS4_IJSA_SE_SG_SG_NSB_INS4_IJiNS7_IiLi128EEEEEELb0EEENSF_ISC_EEEEENS4_IJSJ_SK_SL_SZ_SP_S10_EEENS4_IJSN_SO_SP_NSI_IJLi6EEEENSI_IJLi7ELi8EEEENSI_IJLi9EEEEEEENSI_IJLi6ELi7ELi8ELi9EEEElEENS3_INS4_IJSU_SE_SG_SG_S1D_S1E_EEENS4_IJSJ_SL_SK_SZ_SP_S10_EEES1K_S1L_lEENS3_INS4_IJSU_SG_SG_NSB_INS4_IJiSC_NS7_IiLi64EEEEEELb0EEES1S_EEENS4_IJSJ_SL_SK_SZ_S10_EEENS4_IJSN_SZ_S10_NSI_IJLi5ELi6ELi7EEEENSI_IJLi8ELi9ELi10EEEEEEENSI_IJLi5ELi6ELi7ELi8ELi9ELi10EEEElEENS_31BlockToCTileMap_M00_N00_M01_N01ILi128ELi128ES12_Lb0EEELb0ELb1EEEvPKT0_S24_PT1_T2_T3_T4_T5_,"axG",@progbits,_ZN2ck19kernel_gemm_dl_v1r3INS_28GridwiseGemmDl_km_kn_mn_v1r3ILi256EDF16_fDF16_LNS_25InMemoryDataOperationEnumE0ENS_16TensorDescriptorINS_5TupleIJNS_5EmbedINS4_IJiiEEENS4_IJNS_17integral_constantIiLi1EEEiEEELb0EEENS_7UnMergeINS4_IJiNS7_IiLi2EEEEEELb0EEENS_11PassThroughIiEEEEENS4_IJNS_8SequenceIJLi0EEEENSI_IJLi2EEEENSI_IJLi1EEEEEEENS4_IJNSI_IJLi1ELi2EEEENSI_IJLi3ELi4EEEENSI_IJLi5EEEEEEENSI_IJLi3ELi5ELi4EEEElEENS3_INS4_IJNS5_IS6_NS4_IJiS8_EEELb0EEESE_SG_EEENS4_IJSJ_SL_SK_EEESQ_SR_lEENS3_INS4_IJSU_SG_SG_EEESW_NS4_IJSN_NSI_IJLi3EEEENSI_IJLi4EEEEEEESO_lEELi128ELi128ELi16ELi2ELi4ELi4ELi1ENSI_IJLi8ELi2EEEES13_NSI_IJLi2ELi1ELi4ELi2EEEENSI_IJLi8ELi1ELi32ELi1EEEENSI_IJLi0ELi3ELi1ELi2EEEES16_NSI_IJLi1ELi1ELi4ELi1EEEES16_NSI_IJLi1ELi1ELi4ELi2EEEES14_S15_S16_S16_S17_S16_S18_NSI_IJLi0ELi1ELi2ELi3ELi4ELi5EEEELi5ELi4EEEDF16_DF16_NS3_INS4_IJSA_SE_SG_SG_NSB_INS4_IJiNS7_IiLi128EEEEEELb0EEENSF_ISC_EEEEENS4_IJSJ_SK_SL_SZ_SP_S10_EEENS4_IJSN_SO_SP_NSI_IJLi6EEEENSI_IJLi7ELi8EEEENSI_IJLi9EEEEEEENSI_IJLi6ELi7ELi8ELi9EEEElEENS3_INS4_IJSU_SE_SG_SG_S1D_S1E_EEENS4_IJSJ_SL_SK_SZ_SP_S10_EEES1K_S1L_lEENS3_INS4_IJSU_SG_SG_NSB_INS4_IJiSC_NS7_IiLi64EEEEEELb0EEES1S_EEENS4_IJSJ_SL_SK_SZ_S10_EEENS4_IJSN_SZ_S10_NSI_IJLi5ELi6ELi7EEEENSI_IJLi8ELi9ELi10EEEEEEENSI_IJLi5ELi6ELi7ELi8ELi9ELi10EEEElEENS_31BlockToCTileMap_M00_N00_M01_N01ILi128ELi128ES12_Lb0EEELb0ELb1EEEvPKT0_S24_PT1_T2_T3_T4_T5_,comdat
	.protected	_ZN2ck19kernel_gemm_dl_v1r3INS_28GridwiseGemmDl_km_kn_mn_v1r3ILi256EDF16_fDF16_LNS_25InMemoryDataOperationEnumE0ENS_16TensorDescriptorINS_5TupleIJNS_5EmbedINS4_IJiiEEENS4_IJNS_17integral_constantIiLi1EEEiEEELb0EEENS_7UnMergeINS4_IJiNS7_IiLi2EEEEEELb0EEENS_11PassThroughIiEEEEENS4_IJNS_8SequenceIJLi0EEEENSI_IJLi2EEEENSI_IJLi1EEEEEEENS4_IJNSI_IJLi1ELi2EEEENSI_IJLi3ELi4EEEENSI_IJLi5EEEEEEENSI_IJLi3ELi5ELi4EEEElEENS3_INS4_IJNS5_IS6_NS4_IJiS8_EEELb0EEESE_SG_EEENS4_IJSJ_SL_SK_EEESQ_SR_lEENS3_INS4_IJSU_SG_SG_EEESW_NS4_IJSN_NSI_IJLi3EEEENSI_IJLi4EEEEEEESO_lEELi128ELi128ELi16ELi2ELi4ELi4ELi1ENSI_IJLi8ELi2EEEES13_NSI_IJLi2ELi1ELi4ELi2EEEENSI_IJLi8ELi1ELi32ELi1EEEENSI_IJLi0ELi3ELi1ELi2EEEES16_NSI_IJLi1ELi1ELi4ELi1EEEES16_NSI_IJLi1ELi1ELi4ELi2EEEES14_S15_S16_S16_S17_S16_S18_NSI_IJLi0ELi1ELi2ELi3ELi4ELi5EEEELi5ELi4EEEDF16_DF16_NS3_INS4_IJSA_SE_SG_SG_NSB_INS4_IJiNS7_IiLi128EEEEEELb0EEENSF_ISC_EEEEENS4_IJSJ_SK_SL_SZ_SP_S10_EEENS4_IJSN_SO_SP_NSI_IJLi6EEEENSI_IJLi7ELi8EEEENSI_IJLi9EEEEEEENSI_IJLi6ELi7ELi8ELi9EEEElEENS3_INS4_IJSU_SE_SG_SG_S1D_S1E_EEENS4_IJSJ_SL_SK_SZ_SP_S10_EEES1K_S1L_lEENS3_INS4_IJSU_SG_SG_NSB_INS4_IJiSC_NS7_IiLi64EEEEEELb0EEES1S_EEENS4_IJSJ_SL_SK_SZ_S10_EEENS4_IJSN_SZ_S10_NSI_IJLi5ELi6ELi7EEEENSI_IJLi8ELi9ELi10EEEEEEENSI_IJLi5ELi6ELi7ELi8ELi9ELi10EEEElEENS_31BlockToCTileMap_M00_N00_M01_N01ILi128ELi128ES12_Lb0EEELb0ELb1EEEvPKT0_S24_PT1_T2_T3_T4_T5_ ; -- Begin function _ZN2ck19kernel_gemm_dl_v1r3INS_28GridwiseGemmDl_km_kn_mn_v1r3ILi256EDF16_fDF16_LNS_25InMemoryDataOperationEnumE0ENS_16TensorDescriptorINS_5TupleIJNS_5EmbedINS4_IJiiEEENS4_IJNS_17integral_constantIiLi1EEEiEEELb0EEENS_7UnMergeINS4_IJiNS7_IiLi2EEEEEELb0EEENS_11PassThroughIiEEEEENS4_IJNS_8SequenceIJLi0EEEENSI_IJLi2EEEENSI_IJLi1EEEEEEENS4_IJNSI_IJLi1ELi2EEEENSI_IJLi3ELi4EEEENSI_IJLi5EEEEEEENSI_IJLi3ELi5ELi4EEEElEENS3_INS4_IJNS5_IS6_NS4_IJiS8_EEELb0EEESE_SG_EEENS4_IJSJ_SL_SK_EEESQ_SR_lEENS3_INS4_IJSU_SG_SG_EEESW_NS4_IJSN_NSI_IJLi3EEEENSI_IJLi4EEEEEEESO_lEELi128ELi128ELi16ELi2ELi4ELi4ELi1ENSI_IJLi8ELi2EEEES13_NSI_IJLi2ELi1ELi4ELi2EEEENSI_IJLi8ELi1ELi32ELi1EEEENSI_IJLi0ELi3ELi1ELi2EEEES16_NSI_IJLi1ELi1ELi4ELi1EEEES16_NSI_IJLi1ELi1ELi4ELi2EEEES14_S15_S16_S16_S17_S16_S18_NSI_IJLi0ELi1ELi2ELi3ELi4ELi5EEEELi5ELi4EEEDF16_DF16_NS3_INS4_IJSA_SE_SG_SG_NSB_INS4_IJiNS7_IiLi128EEEEEELb0EEENSF_ISC_EEEEENS4_IJSJ_SK_SL_SZ_SP_S10_EEENS4_IJSN_SO_SP_NSI_IJLi6EEEENSI_IJLi7ELi8EEEENSI_IJLi9EEEEEEENSI_IJLi6ELi7ELi8ELi9EEEElEENS3_INS4_IJSU_SE_SG_SG_S1D_S1E_EEENS4_IJSJ_SL_SK_SZ_SP_S10_EEES1K_S1L_lEENS3_INS4_IJSU_SG_SG_NSB_INS4_IJiSC_NS7_IiLi64EEEEEELb0EEES1S_EEENS4_IJSJ_SL_SK_SZ_S10_EEENS4_IJSN_SZ_S10_NSI_IJLi5ELi6ELi7EEEENSI_IJLi8ELi9ELi10EEEEEEENSI_IJLi5ELi6ELi7ELi8ELi9ELi10EEEElEENS_31BlockToCTileMap_M00_N00_M01_N01ILi128ELi128ES12_Lb0EEELb0ELb1EEEvPKT0_S24_PT1_T2_T3_T4_T5_
	.globl	_ZN2ck19kernel_gemm_dl_v1r3INS_28GridwiseGemmDl_km_kn_mn_v1r3ILi256EDF16_fDF16_LNS_25InMemoryDataOperationEnumE0ENS_16TensorDescriptorINS_5TupleIJNS_5EmbedINS4_IJiiEEENS4_IJNS_17integral_constantIiLi1EEEiEEELb0EEENS_7UnMergeINS4_IJiNS7_IiLi2EEEEEELb0EEENS_11PassThroughIiEEEEENS4_IJNS_8SequenceIJLi0EEEENSI_IJLi2EEEENSI_IJLi1EEEEEEENS4_IJNSI_IJLi1ELi2EEEENSI_IJLi3ELi4EEEENSI_IJLi5EEEEEEENSI_IJLi3ELi5ELi4EEEElEENS3_INS4_IJNS5_IS6_NS4_IJiS8_EEELb0EEESE_SG_EEENS4_IJSJ_SL_SK_EEESQ_SR_lEENS3_INS4_IJSU_SG_SG_EEESW_NS4_IJSN_NSI_IJLi3EEEENSI_IJLi4EEEEEEESO_lEELi128ELi128ELi16ELi2ELi4ELi4ELi1ENSI_IJLi8ELi2EEEES13_NSI_IJLi2ELi1ELi4ELi2EEEENSI_IJLi8ELi1ELi32ELi1EEEENSI_IJLi0ELi3ELi1ELi2EEEES16_NSI_IJLi1ELi1ELi4ELi1EEEES16_NSI_IJLi1ELi1ELi4ELi2EEEES14_S15_S16_S16_S17_S16_S18_NSI_IJLi0ELi1ELi2ELi3ELi4ELi5EEEELi5ELi4EEEDF16_DF16_NS3_INS4_IJSA_SE_SG_SG_NSB_INS4_IJiNS7_IiLi128EEEEEELb0EEENSF_ISC_EEEEENS4_IJSJ_SK_SL_SZ_SP_S10_EEENS4_IJSN_SO_SP_NSI_IJLi6EEEENSI_IJLi7ELi8EEEENSI_IJLi9EEEEEEENSI_IJLi6ELi7ELi8ELi9EEEElEENS3_INS4_IJSU_SE_SG_SG_S1D_S1E_EEENS4_IJSJ_SL_SK_SZ_SP_S10_EEES1K_S1L_lEENS3_INS4_IJSU_SG_SG_NSB_INS4_IJiSC_NS7_IiLi64EEEEEELb0EEES1S_EEENS4_IJSJ_SL_SK_SZ_S10_EEENS4_IJSN_SZ_S10_NSI_IJLi5ELi6ELi7EEEENSI_IJLi8ELi9ELi10EEEEEEENSI_IJLi5ELi6ELi7ELi8ELi9ELi10EEEElEENS_31BlockToCTileMap_M00_N00_M01_N01ILi128ELi128ES12_Lb0EEELb0ELb1EEEvPKT0_S24_PT1_T2_T3_T4_T5_
	.p2align	8
	.type	_ZN2ck19kernel_gemm_dl_v1r3INS_28GridwiseGemmDl_km_kn_mn_v1r3ILi256EDF16_fDF16_LNS_25InMemoryDataOperationEnumE0ENS_16TensorDescriptorINS_5TupleIJNS_5EmbedINS4_IJiiEEENS4_IJNS_17integral_constantIiLi1EEEiEEELb0EEENS_7UnMergeINS4_IJiNS7_IiLi2EEEEEELb0EEENS_11PassThroughIiEEEEENS4_IJNS_8SequenceIJLi0EEEENSI_IJLi2EEEENSI_IJLi1EEEEEEENS4_IJNSI_IJLi1ELi2EEEENSI_IJLi3ELi4EEEENSI_IJLi5EEEEEEENSI_IJLi3ELi5ELi4EEEElEENS3_INS4_IJNS5_IS6_NS4_IJiS8_EEELb0EEESE_SG_EEENS4_IJSJ_SL_SK_EEESQ_SR_lEENS3_INS4_IJSU_SG_SG_EEESW_NS4_IJSN_NSI_IJLi3EEEENSI_IJLi4EEEEEEESO_lEELi128ELi128ELi16ELi2ELi4ELi4ELi1ENSI_IJLi8ELi2EEEES13_NSI_IJLi2ELi1ELi4ELi2EEEENSI_IJLi8ELi1ELi32ELi1EEEENSI_IJLi0ELi3ELi1ELi2EEEES16_NSI_IJLi1ELi1ELi4ELi1EEEES16_NSI_IJLi1ELi1ELi4ELi2EEEES14_S15_S16_S16_S17_S16_S18_NSI_IJLi0ELi1ELi2ELi3ELi4ELi5EEEELi5ELi4EEEDF16_DF16_NS3_INS4_IJSA_SE_SG_SG_NSB_INS4_IJiNS7_IiLi128EEEEEELb0EEENSF_ISC_EEEEENS4_IJSJ_SK_SL_SZ_SP_S10_EEENS4_IJSN_SO_SP_NSI_IJLi6EEEENSI_IJLi7ELi8EEEENSI_IJLi9EEEEEEENSI_IJLi6ELi7ELi8ELi9EEEElEENS3_INS4_IJSU_SE_SG_SG_S1D_S1E_EEENS4_IJSJ_SL_SK_SZ_SP_S10_EEES1K_S1L_lEENS3_INS4_IJSU_SG_SG_NSB_INS4_IJiSC_NS7_IiLi64EEEEEELb0EEES1S_EEENS4_IJSJ_SL_SK_SZ_S10_EEENS4_IJSN_SZ_S10_NSI_IJLi5ELi6ELi7EEEENSI_IJLi8ELi9ELi10EEEEEEENSI_IJLi5ELi6ELi7ELi8ELi9ELi10EEEElEENS_31BlockToCTileMap_M00_N00_M01_N01ILi128ELi128ES12_Lb0EEELb0ELb1EEEvPKT0_S24_PT1_T2_T3_T4_T5_,@function
_ZN2ck19kernel_gemm_dl_v1r3INS_28GridwiseGemmDl_km_kn_mn_v1r3ILi256EDF16_fDF16_LNS_25InMemoryDataOperationEnumE0ENS_16TensorDescriptorINS_5TupleIJNS_5EmbedINS4_IJiiEEENS4_IJNS_17integral_constantIiLi1EEEiEEELb0EEENS_7UnMergeINS4_IJiNS7_IiLi2EEEEEELb0EEENS_11PassThroughIiEEEEENS4_IJNS_8SequenceIJLi0EEEENSI_IJLi2EEEENSI_IJLi1EEEEEEENS4_IJNSI_IJLi1ELi2EEEENSI_IJLi3ELi4EEEENSI_IJLi5EEEEEEENSI_IJLi3ELi5ELi4EEEElEENS3_INS4_IJNS5_IS6_NS4_IJiS8_EEELb0EEESE_SG_EEENS4_IJSJ_SL_SK_EEESQ_SR_lEENS3_INS4_IJSU_SG_SG_EEESW_NS4_IJSN_NSI_IJLi3EEEENSI_IJLi4EEEEEEESO_lEELi128ELi128ELi16ELi2ELi4ELi4ELi1ENSI_IJLi8ELi2EEEES13_NSI_IJLi2ELi1ELi4ELi2EEEENSI_IJLi8ELi1ELi32ELi1EEEENSI_IJLi0ELi3ELi1ELi2EEEES16_NSI_IJLi1ELi1ELi4ELi1EEEES16_NSI_IJLi1ELi1ELi4ELi2EEEES14_S15_S16_S16_S17_S16_S18_NSI_IJLi0ELi1ELi2ELi3ELi4ELi5EEEELi5ELi4EEEDF16_DF16_NS3_INS4_IJSA_SE_SG_SG_NSB_INS4_IJiNS7_IiLi128EEEEEELb0EEENSF_ISC_EEEEENS4_IJSJ_SK_SL_SZ_SP_S10_EEENS4_IJSN_SO_SP_NSI_IJLi6EEEENSI_IJLi7ELi8EEEENSI_IJLi9EEEEEEENSI_IJLi6ELi7ELi8ELi9EEEElEENS3_INS4_IJSU_SE_SG_SG_S1D_S1E_EEENS4_IJSJ_SL_SK_SZ_SP_S10_EEES1K_S1L_lEENS3_INS4_IJSU_SG_SG_NSB_INS4_IJiSC_NS7_IiLi64EEEEEELb0EEES1S_EEENS4_IJSJ_SL_SK_SZ_S10_EEENS4_IJSN_SZ_S10_NSI_IJLi5ELi6ELi7EEEENSI_IJLi8ELi9ELi10EEEEEEENSI_IJLi5ELi6ELi7ELi8ELi9ELi10EEEElEENS_31BlockToCTileMap_M00_N00_M01_N01ILi128ELi128ES12_Lb0EEELb0ELb1EEEvPKT0_S24_PT1_T2_T3_T4_T5_: ; @_ZN2ck19kernel_gemm_dl_v1r3INS_28GridwiseGemmDl_km_kn_mn_v1r3ILi256EDF16_fDF16_LNS_25InMemoryDataOperationEnumE0ENS_16TensorDescriptorINS_5TupleIJNS_5EmbedINS4_IJiiEEENS4_IJNS_17integral_constantIiLi1EEEiEEELb0EEENS_7UnMergeINS4_IJiNS7_IiLi2EEEEEELb0EEENS_11PassThroughIiEEEEENS4_IJNS_8SequenceIJLi0EEEENSI_IJLi2EEEENSI_IJLi1EEEEEEENS4_IJNSI_IJLi1ELi2EEEENSI_IJLi3ELi4EEEENSI_IJLi5EEEEEEENSI_IJLi3ELi5ELi4EEEElEENS3_INS4_IJNS5_IS6_NS4_IJiS8_EEELb0EEESE_SG_EEENS4_IJSJ_SL_SK_EEESQ_SR_lEENS3_INS4_IJSU_SG_SG_EEESW_NS4_IJSN_NSI_IJLi3EEEENSI_IJLi4EEEEEEESO_lEELi128ELi128ELi16ELi2ELi4ELi4ELi1ENSI_IJLi8ELi2EEEES13_NSI_IJLi2ELi1ELi4ELi2EEEENSI_IJLi8ELi1ELi32ELi1EEEENSI_IJLi0ELi3ELi1ELi2EEEES16_NSI_IJLi1ELi1ELi4ELi1EEEES16_NSI_IJLi1ELi1ELi4ELi2EEEES14_S15_S16_S16_S17_S16_S18_NSI_IJLi0ELi1ELi2ELi3ELi4ELi5EEEELi5ELi4EEEDF16_DF16_NS3_INS4_IJSA_SE_SG_SG_NSB_INS4_IJiNS7_IiLi128EEEEEELb0EEENSF_ISC_EEEEENS4_IJSJ_SK_SL_SZ_SP_S10_EEENS4_IJSN_SO_SP_NSI_IJLi6EEEENSI_IJLi7ELi8EEEENSI_IJLi9EEEEEEENSI_IJLi6ELi7ELi8ELi9EEEElEENS3_INS4_IJSU_SE_SG_SG_S1D_S1E_EEENS4_IJSJ_SL_SK_SZ_SP_S10_EEES1K_S1L_lEENS3_INS4_IJSU_SG_SG_NSB_INS4_IJiSC_NS7_IiLi64EEEEEELb0EEES1S_EEENS4_IJSJ_SL_SK_SZ_S10_EEENS4_IJSN_SZ_S10_NSI_IJLi5ELi6ELi7EEEENSI_IJLi8ELi9ELi10EEEEEEENSI_IJLi5ELi6ELi7ELi8ELi9ELi10EEEElEENS_31BlockToCTileMap_M00_N00_M01_N01ILi128ELi128ES12_Lb0EEELb0ELb1EEEvPKT0_S24_PT1_T2_T3_T4_T5_
; %bb.0:
	s_load_dwordx4 s[12:15], s[4:5], 0x0
	s_load_dwordx2 s[0:1], s[4:5], 0x10
	s_load_dwordx4 s[8:11], s[4:5], 0x108
	s_load_dwordx4 s[20:23], s[4:5], 0x11c
	;; [unrolled: 1-line block ×3, first 2 shown]
	s_load_dword s19, s[4:5], 0x24
	s_load_dword s7, s[4:5], 0x50
	;; [unrolled: 1-line block ×8, first 2 shown]
	s_waitcnt lgkmcnt(0)
	s_mul_hi_u32 s4, s23, s6
	s_add_i32 s4, s6, s4
	s_lshr_b32 s4, s4, s27
	s_mul_i32 s5, s4, s11
	s_sub_i32 s5, s6, s5
	s_mul_hi_u32 s6, s4, s22
	s_add_i32 s6, s4, s6
	s_lshr_b32 s6, s6, s26
	s_mul_i32 s10, s6, s10
	s_sub_i32 s4, s4, s10
	s_mul_hi_u32 s10, s6, s21
	s_add_i32 s10, s6, s10
	s_lshr_b32 s10, s10, s25
	s_mul_i32 s9, s10, s9
	v_lshrrev_b32_e32 v1, 4, v0
	s_sub_i32 s6, s6, s9
	s_mul_hi_u32 s9, s10, s20
	v_and_b32_e32 v1, 14, v1
	s_add_i32 s9, s10, s9
	v_lshlrev_b32_e32 v2, 1, v1
	s_lshr_b32 s9, s9, s24
	v_mul_lo_u32 v3, s19, v2
	v_mul_lo_u32 v2, s18, v2
	s_mul_i32 s9, s9, s8
	s_mul_i32 s6, s6, s17
	s_sub_i32 s8, s10, s9
	s_add_i32 s5, s5, s6
	v_lshlrev_b32_e32 v19, 2, v0
	s_mul_i32 s8, s8, s3
	v_and_b32_e32 v4, 0x7c, v19
	s_lshl_b32 s3, s5, 7
	s_add_i32 s4, s4, s8
	v_add3_u32 v2, v2, v4, s3
	s_lshl_b32 s17, s4, 7
	s_mov_b32 s4, s12
	v_add_u32_e32 v10, s18, v2
	s_lshl_b32 s12, s18, 1
	v_add3_u32 v3, v3, v4, s17
	s_lshl_b32 s6, s7, 1
	s_mov_b32 s7, 0x20000
	v_add_u32_e32 v23, s12, v10
	v_add_u32_e32 v24, s12, v2
	s_and_b32 s5, s13, 0xffff
	v_add_u32_e32 v18, s19, v3
	s_lshl_b32 s10, s28, 1
	s_and_b32 s9, s15, 0xffff
	s_mov_b32 s8, s14
	s_mov_b32 s11, s7
	v_lshlrev_b32_e32 v9, 1, v2
	v_lshlrev_b32_e32 v11, 1, v10
	;; [unrolled: 1-line block ×4, first 2 shown]
	s_lshl_b32 s13, s19, 1
	v_lshlrev_b32_e32 v17, 1, v3
	buffer_load_dwordx2 v[5:6], v9, s[8:11], 0 offen
	buffer_load_dwordx2 v[7:8], v11, s[8:11], 0 offen
	s_nop 0
	buffer_load_dwordx2 v[9:10], v13, s[8:11], 0 offen
	buffer_load_dwordx2 v[11:12], v2, s[8:11], 0 offen
	v_lshlrev_b32_e32 v2, 1, v18
	v_add_u32_e32 v25, s13, v18
	buffer_load_dwordx2 v[13:14], v17, s[4:7], 0 offen
	buffer_load_dwordx2 v[15:16], v2, s[4:7], 0 offen
	v_lshlrev_b32_e32 v2, 1, v25
	v_add_u32_e32 v26, s13, v3
	v_lshlrev_b32_e32 v3, 1, v26
	buffer_load_dwordx2 v[17:18], v2, s[4:7], 0 offen
	buffer_load_dwordx2 v[21:22], v3, s[4:7], 0 offen
	s_mov_b32 s14, 0x7060302
	s_mov_b32 s15, 0x5040100
	v_lshlrev_b32_e32 v2, 2, v4
	v_lshl_or_b32 v20, v1, 9, v2
	s_mul_i32 s20, s19, 30
	s_mul_i32 s21, s18, 30
	s_lshl_b32 s2, s2, 1
	s_and_b32 s1, s1, 0xffff
	s_waitcnt vmcnt(6)
	v_perm_b32 v4, v8, v6, s14
	v_perm_b32 v2, v7, v5, s14
	;; [unrolled: 1-line block ×4, first 2 shown]
	s_waitcnt vmcnt(4)
	v_perm_b32 v8, v10, v12, s14
	v_perm_b32 v6, v9, v11, s14
	;; [unrolled: 1-line block ×4, first 2 shown]
	ds_write_b128 v20, v[1:4] offset:16384
	ds_write_b128 v20, v[5:8] offset:16896
	s_waitcnt vmcnt(2)
	v_perm_b32 v4, v16, v14, s14
	v_perm_b32 v2, v15, v13, s14
	;; [unrolled: 1-line block ×4, first 2 shown]
	s_waitcnt vmcnt(0)
	v_perm_b32 v8, v18, v22, s14
	v_perm_b32 v6, v17, v21, s14
	;; [unrolled: 1-line block ×4, first 2 shown]
	ds_write_b128 v20, v[1:4]
	ds_write_b128 v20, v[5:8] offset:512
	v_add_u32_e32 v2, s20, v25
	v_lshlrev_b32_e32 v3, 1, v2
	v_add_u32_e32 v2, s13, v2
	v_lshlrev_b32_e32 v12, 1, v2
	v_subrev_u32_e32 v2, s19, v2
	v_add_lshl_u32 v1, v26, s20, 1
	v_lshlrev_b32_e32 v2, 1, v2
	s_waitcnt lgkmcnt(0)
	s_barrier
	buffer_load_dwordx2 v[4:5], v1, s[4:7], 0 offen
	buffer_load_dwordx2 v[6:7], v3, s[4:7], 0 offen
	buffer_load_dwordx2 v[8:9], v12, s[4:7], 0 offen
	buffer_load_dwordx2 v[10:11], v2, s[4:7], 0 offen
	v_add_lshl_u32 v1, v24, s21, 1
	v_add_u32_e32 v2, s21, v23
	v_lshlrev_b32_e32 v3, 1, v2
	buffer_load_dwordx2 v[12:13], v1, s[8:11], 0 offen
	buffer_load_dwordx2 v[14:15], v3, s[8:11], 0 offen
	v_add_u32_e32 v1, s12, v2
	v_lshlrev_b32_e32 v2, 1, v1
	v_subrev_u32_e32 v1, s18, v1
	v_lshlrev_b32_e32 v1, 1, v1
	buffer_load_dwordx2 v[37:38], v2, s[8:11], 0 offen
	buffer_load_dwordx2 v[39:40], v1, s[8:11], 0 offen
	v_lshrrev_b32_e32 v1, 5, v0
	v_lshlrev_b32_e32 v0, 1, v0
	v_lshlrev_b32_e32 v2, 6, v1
	v_and_b32_e32 v3, 0x1f8, v0
	v_lshlrev_b32_e32 v1, 3, v1
	v_sub_u32_e32 v2, v3, v2
	v_and_or_b32 v17, v0, 4, v1
	v_and_or_b32 v16, v19, 4, v2
	v_lshlrev_b32_e32 v18, 2, v17
	v_lshlrev_b32_e32 v19, 2, v16
	ds_read_b128 v[21:24], v18
	ds_read_b128 v[25:28], v19 offset:16384
	ds_read_b128 v[29:32], v19 offset:16640
	;; [unrolled: 1-line block ×3, first 2 shown]
	s_waitcnt lgkmcnt(2)
	v_dot2_f32_f16 v41, v21, v25, 0
	v_dot2_f32_f16 v42, v21, v26, 0
	;; [unrolled: 1-line block ×16, first 2 shown]
	s_waitcnt lgkmcnt(1)
	v_dot2_f32_f16 v57, v21, v29, 0
	v_dot2_f32_f16 v58, v21, v30, 0
	;; [unrolled: 1-line block ×12, first 2 shown]
	s_waitcnt lgkmcnt(0)
	v_dot2_f32_f16 v69, v33, v25, 0
	v_dot2_f32_f16 v70, v33, v26, 0
	v_dot2_f32_f16 v71, v33, v27, 0
	v_dot2_f32_f16 v72, v33, v28, 0
	v_dot2_f32_f16 v73, v34, v25, 0
	v_dot2_f32_f16 v74, v34, v26, 0
	v_dot2_f32_f16 v75, v34, v27, 0
	v_dot2_f32_f16 v76, v34, v28, 0
	v_dot2_f32_f16 v77, v35, v25, 0
	v_dot2_f32_f16 v78, v35, v26, 0
	v_dot2_f32_f16 v79, v35, v27, 0
	v_dot2_f32_f16 v80, v35, v28, 0
	v_dot2_f32_f16 v81, v36, v25, 0
	v_dot2_f32_f16 v82, v36, v26, 0
	v_dot2_f32_f16 v83, v36, v27, 0
	v_dot2_f32_f16 v84, v36, v28, 0
	ds_read_b128 v[25:28], v19 offset:16896
	v_dot2_f32_f16 v85, v33, v29, 0
	v_dot2_f32_f16 v86, v33, v30, 0
	;; [unrolled: 1-line block ×10, first 2 shown]
	s_waitcnt vmcnt(6)
	v_perm_b32 v3, v7, v5, s14
	v_perm_b32 v1, v6, v4, s14
	v_perm_b32 v0, v6, v4, s15
	v_perm_b32 v2, v7, v5, s15
	s_waitcnt vmcnt(4)
	v_perm_b32 v7, v9, v11, s14
	v_perm_b32 v5, v8, v10, s14
	v_perm_b32 v4, v8, v10, s15
	v_perm_b32 v6, v9, v11, s15
	;; [unrolled: 5-line block ×4, first 2 shown]
	v_dot2_f32_f16 v37, v23, v31, 0
	v_dot2_f32_f16 v38, v23, v32, 0
	v_dot2_f32_f16 v39, v24, v29, 0
	v_dot2_f32_f16 v40, v24, v30, 0
	ds_read_b128 v[21:24], v18 offset:512
	v_dot2_f32_f16 v95, v35, v31, 0
	v_dot2_f32_f16 v96, v35, v32, 0
	;; [unrolled: 1-line block ×6, first 2 shown]
	ds_read_b128 v[29:32], v19 offset:17152
	ds_read_b128 v[33:36], v18 offset:768
	s_waitcnt lgkmcnt(2)
	v_dot2_f32_f16 v41, v21, v25, v41
	v_dot2_f32_f16 v42, v21, v26, v42
	;; [unrolled: 1-line block ×16, first 2 shown]
	s_waitcnt lgkmcnt(1)
	v_dot2_f32_f16 v57, v21, v29, v57
	v_dot2_f32_f16 v58, v21, v30, v58
	;; [unrolled: 1-line block ×16, first 2 shown]
	ds_read_b128 v[21:24], v18 offset:1024
	s_waitcnt lgkmcnt(1)
	v_dot2_f32_f16 v69, v33, v25, v69
	v_dot2_f32_f16 v70, v33, v26, v70
	;; [unrolled: 1-line block ×16, first 2 shown]
	ds_read_b128 v[25:28], v19 offset:17408
	v_dot2_f32_f16 v85, v33, v29, v85
	v_dot2_f32_f16 v86, v33, v30, v86
	;; [unrolled: 1-line block ×16, first 2 shown]
	ds_read_b128 v[29:32], v19 offset:17664
	ds_read_b128 v[33:36], v18 offset:1280
	s_waitcnt lgkmcnt(2)
	v_dot2_f32_f16 v41, v21, v25, v41
	v_dot2_f32_f16 v42, v21, v26, v42
	;; [unrolled: 1-line block ×16, first 2 shown]
	s_waitcnt lgkmcnt(1)
	v_dot2_f32_f16 v57, v21, v29, v57
	v_dot2_f32_f16 v58, v21, v30, v58
	;; [unrolled: 1-line block ×16, first 2 shown]
	ds_read_b128 v[21:24], v18 offset:1536
	s_waitcnt lgkmcnt(1)
	v_dot2_f32_f16 v69, v33, v25, v69
	v_dot2_f32_f16 v70, v33, v26, v70
	;; [unrolled: 1-line block ×16, first 2 shown]
	ds_read_b128 v[25:28], v19 offset:17920
	v_dot2_f32_f16 v85, v33, v29, v85
	v_dot2_f32_f16 v86, v33, v30, v86
	;; [unrolled: 1-line block ×16, first 2 shown]
	ds_read_b128 v[29:32], v19 offset:18176
	ds_read_b128 v[33:36], v18 offset:1792
	s_waitcnt lgkmcnt(2)
	v_dot2_f32_f16 v41, v21, v25, v41
	v_dot2_f32_f16 v42, v21, v26, v42
	;; [unrolled: 1-line block ×16, first 2 shown]
	s_waitcnt lgkmcnt(1)
	v_dot2_f32_f16 v57, v21, v29, v57
	v_dot2_f32_f16 v58, v21, v30, v58
	;; [unrolled: 1-line block ×16, first 2 shown]
	ds_read_b128 v[21:24], v18 offset:2048
	s_waitcnt lgkmcnt(1)
	v_dot2_f32_f16 v69, v33, v25, v69
	v_dot2_f32_f16 v70, v33, v26, v70
	v_dot2_f32_f16 v71, v33, v27, v71
	v_dot2_f32_f16 v72, v33, v28, v72
	v_dot2_f32_f16 v73, v34, v25, v73
	v_dot2_f32_f16 v74, v34, v26, v74
	v_dot2_f32_f16 v75, v34, v27, v75
	v_dot2_f32_f16 v76, v34, v28, v76
	v_dot2_f32_f16 v77, v35, v25, v77
	v_dot2_f32_f16 v78, v35, v26, v78
	v_dot2_f32_f16 v79, v35, v27, v79
	v_dot2_f32_f16 v80, v35, v28, v80
	v_dot2_f32_f16 v81, v36, v25, v81
	v_dot2_f32_f16 v82, v36, v26, v82
	v_dot2_f32_f16 v83, v36, v27, v83
	v_dot2_f32_f16 v84, v36, v28, v84
	ds_read_b128 v[25:28], v19 offset:18432
	v_dot2_f32_f16 v85, v33, v29, v85
	v_dot2_f32_f16 v86, v33, v30, v86
	;; [unrolled: 1-line block ×16, first 2 shown]
	ds_read_b128 v[29:32], v19 offset:18688
	ds_read_b128 v[33:36], v18 offset:2304
	s_waitcnt lgkmcnt(2)
	v_dot2_f32_f16 v41, v21, v25, v41
	v_dot2_f32_f16 v42, v21, v26, v42
	;; [unrolled: 1-line block ×16, first 2 shown]
	s_waitcnt lgkmcnt(1)
	v_dot2_f32_f16 v57, v21, v29, v57
	v_dot2_f32_f16 v58, v21, v30, v58
	v_dot2_f32_f16 v59, v21, v31, v59
	v_dot2_f32_f16 v60, v21, v32, v60
	v_dot2_f32_f16 v61, v22, v29, v61
	v_dot2_f32_f16 v62, v22, v30, v62
	v_dot2_f32_f16 v63, v22, v31, v63
	v_dot2_f32_f16 v64, v22, v32, v64
	v_dot2_f32_f16 v65, v23, v29, v65
	v_dot2_f32_f16 v66, v23, v30, v66
	v_dot2_f32_f16 v37, v23, v31, v37
	v_dot2_f32_f16 v38, v23, v32, v38
	v_dot2_f32_f16 v39, v24, v29, v39
	v_dot2_f32_f16 v40, v24, v30, v40
	v_dot2_f32_f16 v67, v24, v31, v67
	v_dot2_f32_f16 v68, v24, v32, v68
	ds_read_b128 v[21:24], v18 offset:2560
	s_waitcnt lgkmcnt(1)
	v_dot2_f32_f16 v69, v33, v25, v69
	v_dot2_f32_f16 v70, v33, v26, v70
	v_dot2_f32_f16 v71, v33, v27, v71
	v_dot2_f32_f16 v72, v33, v28, v72
	v_dot2_f32_f16 v73, v34, v25, v73
	v_dot2_f32_f16 v74, v34, v26, v74
	v_dot2_f32_f16 v75, v34, v27, v75
	v_dot2_f32_f16 v76, v34, v28, v76
	v_dot2_f32_f16 v77, v35, v25, v77
	v_dot2_f32_f16 v78, v35, v26, v78
	v_dot2_f32_f16 v79, v35, v27, v79
	v_dot2_f32_f16 v80, v35, v28, v80
	v_dot2_f32_f16 v81, v36, v25, v81
	v_dot2_f32_f16 v82, v36, v26, v82
	v_dot2_f32_f16 v83, v36, v27, v83
	v_dot2_f32_f16 v84, v36, v28, v84
	ds_read_b128 v[25:28], v19 offset:18944
	v_dot2_f32_f16 v85, v33, v29, v85
	v_dot2_f32_f16 v86, v33, v30, v86
	;; [unrolled: 1-line block ×16, first 2 shown]
	ds_read_b128 v[29:32], v19 offset:19200
	ds_read_b128 v[33:36], v18 offset:2816
	s_waitcnt lgkmcnt(2)
	v_dot2_f32_f16 v41, v21, v25, v41
	v_dot2_f32_f16 v42, v21, v26, v42
	;; [unrolled: 1-line block ×16, first 2 shown]
	s_waitcnt lgkmcnt(1)
	v_dot2_f32_f16 v57, v21, v29, v57
	v_dot2_f32_f16 v58, v21, v30, v58
	;; [unrolled: 1-line block ×16, first 2 shown]
	ds_read_b128 v[21:24], v18 offset:3072
	s_waitcnt lgkmcnt(1)
	v_dot2_f32_f16 v69, v33, v25, v69
	v_dot2_f32_f16 v70, v33, v26, v70
	;; [unrolled: 1-line block ×16, first 2 shown]
	ds_read_b128 v[25:28], v19 offset:19456
	v_dot2_f32_f16 v85, v33, v29, v85
	v_dot2_f32_f16 v86, v33, v30, v86
	;; [unrolled: 1-line block ×16, first 2 shown]
	ds_read_b128 v[29:32], v19 offset:19712
	ds_read_b128 v[33:36], v18 offset:3328
	s_waitcnt lgkmcnt(2)
	v_dot2_f32_f16 v41, v21, v25, v41
	v_dot2_f32_f16 v42, v21, v26, v42
	;; [unrolled: 1-line block ×16, first 2 shown]
	s_waitcnt lgkmcnt(1)
	v_dot2_f32_f16 v57, v21, v29, v57
	v_dot2_f32_f16 v58, v21, v30, v58
	;; [unrolled: 1-line block ×16, first 2 shown]
	ds_read_b128 v[21:24], v18 offset:3584
	s_waitcnt lgkmcnt(1)
	v_dot2_f32_f16 v69, v33, v25, v69
	v_dot2_f32_f16 v70, v33, v26, v70
	;; [unrolled: 1-line block ×16, first 2 shown]
	ds_read_b128 v[25:28], v19 offset:19968
	v_dot2_f32_f16 v85, v33, v29, v85
	v_dot2_f32_f16 v86, v33, v30, v86
	;; [unrolled: 1-line block ×16, first 2 shown]
	ds_read_b128 v[29:32], v19 offset:20224
	ds_read_b128 v[33:36], v18 offset:3840
	s_waitcnt lgkmcnt(2)
	v_dot2_f32_f16 v41, v21, v25, v41
	v_dot2_f32_f16 v42, v21, v26, v42
	;; [unrolled: 1-line block ×16, first 2 shown]
	s_waitcnt lgkmcnt(1)
	v_dot2_f32_f16 v57, v21, v29, v57
	v_dot2_f32_f16 v58, v21, v30, v58
	;; [unrolled: 1-line block ×16, first 2 shown]
	ds_read_b128 v[21:24], v18 offset:4096
	s_waitcnt lgkmcnt(1)
	v_dot2_f32_f16 v69, v33, v25, v69
	v_dot2_f32_f16 v70, v33, v26, v70
	;; [unrolled: 1-line block ×16, first 2 shown]
	ds_read_b128 v[25:28], v19 offset:20480
	v_dot2_f32_f16 v85, v33, v29, v85
	v_dot2_f32_f16 v86, v33, v30, v86
	;; [unrolled: 1-line block ×16, first 2 shown]
	ds_read_b128 v[29:32], v19 offset:20736
	ds_read_b128 v[33:36], v18 offset:4352
	s_waitcnt lgkmcnt(2)
	v_dot2_f32_f16 v41, v21, v25, v41
	v_dot2_f32_f16 v42, v21, v26, v42
	;; [unrolled: 1-line block ×16, first 2 shown]
	s_waitcnt lgkmcnt(1)
	v_dot2_f32_f16 v57, v21, v29, v57
	v_dot2_f32_f16 v58, v21, v30, v58
	;; [unrolled: 1-line block ×16, first 2 shown]
	ds_read_b128 v[21:24], v18 offset:4608
	s_waitcnt lgkmcnt(1)
	v_dot2_f32_f16 v69, v33, v25, v69
	v_dot2_f32_f16 v70, v33, v26, v70
	;; [unrolled: 1-line block ×16, first 2 shown]
	ds_read_b128 v[25:28], v19 offset:20992
	v_dot2_f32_f16 v85, v33, v29, v85
	v_dot2_f32_f16 v86, v33, v30, v86
	;; [unrolled: 1-line block ×16, first 2 shown]
	ds_read_b128 v[29:32], v19 offset:21248
	ds_read_b128 v[33:36], v18 offset:4864
	s_waitcnt lgkmcnt(2)
	v_dot2_f32_f16 v41, v21, v25, v41
	v_dot2_f32_f16 v42, v21, v26, v42
	v_dot2_f32_f16 v43, v21, v27, v43
	v_dot2_f32_f16 v44, v21, v28, v44
	v_dot2_f32_f16 v45, v22, v25, v45
	v_dot2_f32_f16 v46, v22, v26, v46
	v_dot2_f32_f16 v47, v22, v27, v47
	v_dot2_f32_f16 v48, v22, v28, v48
	v_dot2_f32_f16 v49, v23, v25, v49
	v_dot2_f32_f16 v50, v23, v26, v50
	v_dot2_f32_f16 v51, v23, v27, v51
	v_dot2_f32_f16 v52, v23, v28, v52
	v_dot2_f32_f16 v53, v24, v25, v53
	v_dot2_f32_f16 v54, v24, v26, v54
	v_dot2_f32_f16 v55, v24, v27, v55
	v_dot2_f32_f16 v56, v24, v28, v56
	s_waitcnt lgkmcnt(1)
	v_dot2_f32_f16 v57, v21, v29, v57
	v_dot2_f32_f16 v58, v21, v30, v58
	v_dot2_f32_f16 v59, v21, v31, v59
	v_dot2_f32_f16 v60, v21, v32, v60
	v_dot2_f32_f16 v61, v22, v29, v61
	v_dot2_f32_f16 v62, v22, v30, v62
	v_dot2_f32_f16 v63, v22, v31, v63
	v_dot2_f32_f16 v64, v22, v32, v64
	v_dot2_f32_f16 v65, v23, v29, v65
	v_dot2_f32_f16 v66, v23, v30, v66
	v_dot2_f32_f16 v37, v23, v31, v37
	v_dot2_f32_f16 v38, v23, v32, v38
	v_dot2_f32_f16 v39, v24, v29, v39
	v_dot2_f32_f16 v40, v24, v30, v40
	v_dot2_f32_f16 v67, v24, v31, v67
	v_dot2_f32_f16 v68, v24, v32, v68
	ds_read_b128 v[21:24], v18 offset:5120
	s_waitcnt lgkmcnt(1)
	v_dot2_f32_f16 v69, v33, v25, v69
	v_dot2_f32_f16 v70, v33, v26, v70
	;; [unrolled: 1-line block ×16, first 2 shown]
	ds_read_b128 v[25:28], v19 offset:21504
	v_dot2_f32_f16 v85, v33, v29, v85
	v_dot2_f32_f16 v86, v33, v30, v86
	v_dot2_f32_f16 v87, v33, v31, v87
	v_dot2_f32_f16 v88, v33, v32, v88
	v_dot2_f32_f16 v89, v34, v29, v89
	v_dot2_f32_f16 v90, v34, v30, v90
	v_dot2_f32_f16 v91, v34, v31, v91
	v_dot2_f32_f16 v92, v34, v32, v92
	v_dot2_f32_f16 v93, v35, v29, v93
	v_dot2_f32_f16 v94, v35, v30, v94
	v_dot2_f32_f16 v95, v35, v31, v95
	v_dot2_f32_f16 v96, v35, v32, v96
	v_dot2_f32_f16 v97, v36, v29, v97
	v_dot2_f32_f16 v98, v36, v30, v98
	v_dot2_f32_f16 v99, v36, v31, v99
	v_dot2_f32_f16 v100, v36, v32, v100
	ds_read_b128 v[29:32], v19 offset:21760
	ds_read_b128 v[33:36], v18 offset:5376
	s_waitcnt lgkmcnt(2)
	v_dot2_f32_f16 v41, v21, v25, v41
	v_dot2_f32_f16 v42, v21, v26, v42
	;; [unrolled: 1-line block ×16, first 2 shown]
	s_waitcnt lgkmcnt(1)
	v_dot2_f32_f16 v57, v21, v29, v57
	v_dot2_f32_f16 v58, v21, v30, v58
	;; [unrolled: 1-line block ×16, first 2 shown]
	ds_read_b128 v[21:24], v18 offset:5632
	s_waitcnt lgkmcnt(1)
	v_dot2_f32_f16 v69, v33, v25, v69
	v_dot2_f32_f16 v70, v33, v26, v70
	;; [unrolled: 1-line block ×16, first 2 shown]
	ds_read_b128 v[25:28], v19 offset:22016
	v_dot2_f32_f16 v85, v33, v29, v85
	v_dot2_f32_f16 v86, v33, v30, v86
	;; [unrolled: 1-line block ×16, first 2 shown]
	ds_read_b128 v[29:32], v19 offset:22272
	ds_read_b128 v[33:36], v18 offset:5888
	s_waitcnt lgkmcnt(2)
	v_dot2_f32_f16 v41, v21, v25, v41
	v_dot2_f32_f16 v42, v21, v26, v42
	;; [unrolled: 1-line block ×16, first 2 shown]
	s_waitcnt lgkmcnt(1)
	v_dot2_f32_f16 v57, v21, v29, v57
	v_dot2_f32_f16 v58, v21, v30, v58
	;; [unrolled: 1-line block ×16, first 2 shown]
	ds_read_b128 v[21:24], v18 offset:6144
	s_waitcnt lgkmcnt(1)
	v_dot2_f32_f16 v69, v33, v25, v69
	v_dot2_f32_f16 v70, v33, v26, v70
	;; [unrolled: 1-line block ×16, first 2 shown]
	ds_read_b128 v[25:28], v19 offset:22528
	v_dot2_f32_f16 v85, v33, v29, v85
	v_dot2_f32_f16 v86, v33, v30, v86
	;; [unrolled: 1-line block ×16, first 2 shown]
	ds_read_b128 v[29:32], v19 offset:22784
	ds_read_b128 v[33:36], v18 offset:6400
	s_waitcnt lgkmcnt(2)
	v_dot2_f32_f16 v41, v21, v25, v41
	v_dot2_f32_f16 v42, v21, v26, v42
	;; [unrolled: 1-line block ×16, first 2 shown]
	s_waitcnt lgkmcnt(1)
	v_dot2_f32_f16 v57, v21, v29, v57
	v_dot2_f32_f16 v58, v21, v30, v58
	;; [unrolled: 1-line block ×16, first 2 shown]
	ds_read_b128 v[21:24], v18 offset:6656
	s_waitcnt lgkmcnt(1)
	v_dot2_f32_f16 v69, v33, v25, v69
	v_dot2_f32_f16 v70, v33, v26, v70
	;; [unrolled: 1-line block ×16, first 2 shown]
	ds_read_b128 v[25:28], v19 offset:23040
	v_dot2_f32_f16 v85, v33, v29, v85
	v_dot2_f32_f16 v86, v33, v30, v86
	;; [unrolled: 1-line block ×16, first 2 shown]
	ds_read_b128 v[29:32], v19 offset:23296
	ds_read_b128 v[33:36], v18 offset:6912
	s_waitcnt lgkmcnt(2)
	v_dot2_f32_f16 v41, v21, v25, v41
	v_dot2_f32_f16 v42, v21, v26, v42
	;; [unrolled: 1-line block ×16, first 2 shown]
	s_waitcnt lgkmcnt(1)
	v_dot2_f32_f16 v57, v21, v29, v57
	v_dot2_f32_f16 v58, v21, v30, v58
	;; [unrolled: 1-line block ×16, first 2 shown]
	ds_read_b128 v[21:24], v18 offset:7168
	s_waitcnt lgkmcnt(1)
	v_dot2_f32_f16 v69, v33, v25, v69
	v_dot2_f32_f16 v70, v33, v26, v70
	;; [unrolled: 1-line block ×16, first 2 shown]
	ds_read_b128 v[25:28], v19 offset:23552
	v_dot2_f32_f16 v85, v33, v29, v85
	v_dot2_f32_f16 v86, v33, v30, v86
	;; [unrolled: 1-line block ×16, first 2 shown]
	ds_read_b128 v[29:32], v19 offset:23808
	ds_read_b128 v[33:36], v18 offset:7424
	s_waitcnt lgkmcnt(2)
	v_dot2_f32_f16 v41, v21, v25, v41
	v_dot2_f32_f16 v42, v21, v26, v42
	;; [unrolled: 1-line block ×16, first 2 shown]
	s_waitcnt lgkmcnt(1)
	v_dot2_f32_f16 v57, v21, v29, v57
	v_dot2_f32_f16 v58, v21, v30, v58
	;; [unrolled: 1-line block ×16, first 2 shown]
	ds_read_b128 v[21:24], v18 offset:7680
	s_waitcnt lgkmcnt(1)
	v_dot2_f32_f16 v69, v33, v25, v69
	v_dot2_f32_f16 v70, v33, v26, v70
	v_dot2_f32_f16 v71, v33, v27, v71
	v_dot2_f32_f16 v72, v33, v28, v72
	v_dot2_f32_f16 v73, v34, v25, v73
	v_dot2_f32_f16 v74, v34, v26, v74
	v_dot2_f32_f16 v75, v34, v27, v75
	v_dot2_f32_f16 v76, v34, v28, v76
	v_dot2_f32_f16 v77, v35, v25, v77
	v_dot2_f32_f16 v78, v35, v26, v78
	v_dot2_f32_f16 v79, v35, v27, v79
	v_dot2_f32_f16 v80, v35, v28, v80
	v_dot2_f32_f16 v81, v36, v25, v81
	v_dot2_f32_f16 v82, v36, v26, v82
	v_dot2_f32_f16 v83, v36, v27, v83
	v_dot2_f32_f16 v84, v36, v28, v84
	ds_read_b128 v[25:28], v19 offset:24064
	v_dot2_f32_f16 v85, v33, v29, v85
	v_dot2_f32_f16 v86, v33, v30, v86
	;; [unrolled: 1-line block ×16, first 2 shown]
	ds_read_b128 v[29:32], v19 offset:24320
	ds_read_b128 v[33:36], v18 offset:7936
	ds_write_b128 v20, v[0:3] offset:8192
	ds_write_b128 v20, v[4:7] offset:8704
	ds_write_b128 v20, v[8:11] offset:24576
	ds_write_b128 v20, v[12:15] offset:25088
	s_waitcnt lgkmcnt(0)
	s_barrier
	ds_read_b128 v[0:3], v18 offset:8192
	ds_read_b128 v[4:7], v19 offset:24576
	;; [unrolled: 1-line block ×4, first 2 shown]
	v_dot2_f32_f16 v41, v21, v25, v41
	v_dot2_f32_f16 v42, v21, v26, v42
	;; [unrolled: 1-line block ×64, first 2 shown]
	s_waitcnt lgkmcnt(2)
	v_dot2_f32_f16 v32, v0, v4, v41
	v_dot2_f32_f16 v36, v0, v5, v42
	;; [unrolled: 1-line block ×16, first 2 shown]
	s_waitcnt lgkmcnt(1)
	v_dot2_f32_f16 v55, v0, v8, v57
	v_dot2_f32_f16 v56, v0, v9, v58
	;; [unrolled: 1-line block ×16, first 2 shown]
	ds_read_b128 v[0:3], v18 offset:8704
	s_waitcnt lgkmcnt(1)
	v_dot2_f32_f16 v63, v12, v4, v65
	v_dot2_f32_f16 v64, v12, v5, v66
	;; [unrolled: 1-line block ×16, first 2 shown]
	ds_read_b128 v[4:7], v19 offset:25088
	v_dot2_f32_f16 v75, v12, v8, v77
	v_dot2_f32_f16 v76, v12, v9, v78
	;; [unrolled: 1-line block ×16, first 2 shown]
	ds_read_b128 v[8:11], v19 offset:25344
	ds_read_b128 v[12:15], v18 offset:8960
	s_waitcnt lgkmcnt(2)
	v_dot2_f32_f16 v32, v0, v4, v32
	v_dot2_f32_f16 v36, v0, v5, v36
	;; [unrolled: 1-line block ×16, first 2 shown]
	s_waitcnt lgkmcnt(1)
	v_dot2_f32_f16 v55, v0, v8, v55
	v_dot2_f32_f16 v56, v0, v9, v56
	;; [unrolled: 1-line block ×16, first 2 shown]
	ds_read_b128 v[0:3], v18 offset:9216
	s_waitcnt lgkmcnt(1)
	v_dot2_f32_f16 v63, v12, v4, v63
	v_dot2_f32_f16 v64, v12, v5, v64
	;; [unrolled: 1-line block ×16, first 2 shown]
	ds_read_b128 v[4:7], v19 offset:25600
	v_dot2_f32_f16 v75, v12, v8, v75
	v_dot2_f32_f16 v76, v12, v9, v76
	;; [unrolled: 1-line block ×16, first 2 shown]
	ds_read_b128 v[8:11], v19 offset:25856
	ds_read_b128 v[12:15], v18 offset:9472
	s_waitcnt lgkmcnt(2)
	v_dot2_f32_f16 v32, v0, v4, v32
	v_dot2_f32_f16 v36, v0, v5, v36
	;; [unrolled: 1-line block ×16, first 2 shown]
	s_waitcnt lgkmcnt(1)
	v_dot2_f32_f16 v55, v0, v8, v55
	v_dot2_f32_f16 v56, v0, v9, v56
	;; [unrolled: 1-line block ×16, first 2 shown]
	ds_read_b128 v[0:3], v18 offset:9728
	s_waitcnt lgkmcnt(1)
	v_dot2_f32_f16 v63, v12, v4, v63
	v_dot2_f32_f16 v64, v12, v5, v64
	v_dot2_f32_f16 v65, v12, v6, v65
	v_dot2_f32_f16 v66, v12, v7, v66
	v_dot2_f32_f16 v67, v13, v4, v67
	v_dot2_f32_f16 v68, v13, v5, v68
	v_dot2_f32_f16 v69, v13, v6, v69
	v_dot2_f32_f16 v70, v13, v7, v70
	v_dot2_f32_f16 v71, v14, v4, v71
	v_dot2_f32_f16 v72, v14, v5, v72
	v_dot2_f32_f16 v73, v14, v6, v73
	v_dot2_f32_f16 v74, v14, v7, v74
	v_dot2_f32_f16 v25, v15, v4, v25
	v_dot2_f32_f16 v26, v15, v5, v26
	v_dot2_f32_f16 v27, v15, v6, v27
	v_dot2_f32_f16 v28, v15, v7, v28
	ds_read_b128 v[4:7], v19 offset:26112
	v_dot2_f32_f16 v75, v12, v8, v75
	v_dot2_f32_f16 v76, v12, v9, v76
	v_dot2_f32_f16 v77, v12, v10, v77
	v_dot2_f32_f16 v33, v12, v11, v33
	v_dot2_f32_f16 v78, v13, v8, v78
	v_dot2_f32_f16 v79, v13, v9, v79
	v_dot2_f32_f16 v80, v13, v10, v80
	v_dot2_f32_f16 v34, v13, v11, v34
	v_dot2_f32_f16 v81, v14, v8, v81
	v_dot2_f32_f16 v82, v14, v9, v82
	v_dot2_f32_f16 v83, v14, v10, v83
	v_dot2_f32_f16 v35, v14, v11, v35
	v_dot2_f32_f16 v29, v15, v8, v29
	v_dot2_f32_f16 v30, v15, v9, v30
	v_dot2_f32_f16 v20, v15, v10, v20
	v_dot2_f32_f16 v31, v15, v11, v31
	ds_read_b128 v[8:11], v19 offset:26368
	ds_read_b128 v[12:15], v18 offset:9984
	s_waitcnt lgkmcnt(2)
	v_dot2_f32_f16 v32, v0, v4, v32
	v_dot2_f32_f16 v36, v0, v5, v36
	;; [unrolled: 1-line block ×16, first 2 shown]
	s_waitcnt lgkmcnt(1)
	v_dot2_f32_f16 v55, v0, v8, v55
	v_dot2_f32_f16 v56, v0, v9, v56
	;; [unrolled: 1-line block ×16, first 2 shown]
	ds_read_b128 v[0:3], v18 offset:10240
	s_waitcnt lgkmcnt(1)
	v_dot2_f32_f16 v63, v12, v4, v63
	v_dot2_f32_f16 v64, v12, v5, v64
	;; [unrolled: 1-line block ×16, first 2 shown]
	ds_read_b128 v[4:7], v19 offset:26624
	v_dot2_f32_f16 v75, v12, v8, v75
	v_dot2_f32_f16 v76, v12, v9, v76
	;; [unrolled: 1-line block ×16, first 2 shown]
	ds_read_b128 v[8:11], v19 offset:26880
	ds_read_b128 v[12:15], v18 offset:10496
	s_waitcnt lgkmcnt(2)
	v_dot2_f32_f16 v32, v0, v4, v32
	v_dot2_f32_f16 v36, v0, v5, v36
	;; [unrolled: 1-line block ×16, first 2 shown]
	s_waitcnt lgkmcnt(1)
	v_dot2_f32_f16 v55, v0, v8, v55
	v_dot2_f32_f16 v56, v0, v9, v56
	;; [unrolled: 1-line block ×16, first 2 shown]
	ds_read_b128 v[0:3], v18 offset:10752
	s_waitcnt lgkmcnt(1)
	v_dot2_f32_f16 v63, v12, v4, v63
	v_dot2_f32_f16 v64, v12, v5, v64
	;; [unrolled: 1-line block ×16, first 2 shown]
	ds_read_b128 v[4:7], v19 offset:27136
	v_dot2_f32_f16 v75, v12, v8, v75
	v_dot2_f32_f16 v76, v12, v9, v76
	v_dot2_f32_f16 v77, v12, v10, v77
	v_dot2_f32_f16 v33, v12, v11, v33
	v_dot2_f32_f16 v78, v13, v8, v78
	v_dot2_f32_f16 v79, v13, v9, v79
	v_dot2_f32_f16 v80, v13, v10, v80
	v_dot2_f32_f16 v34, v13, v11, v34
	v_dot2_f32_f16 v81, v14, v8, v81
	v_dot2_f32_f16 v82, v14, v9, v82
	v_dot2_f32_f16 v83, v14, v10, v83
	v_dot2_f32_f16 v35, v14, v11, v35
	v_dot2_f32_f16 v29, v15, v8, v29
	v_dot2_f32_f16 v30, v15, v9, v30
	v_dot2_f32_f16 v20, v15, v10, v20
	v_dot2_f32_f16 v31, v15, v11, v31
	ds_read_b128 v[8:11], v19 offset:27392
	ds_read_b128 v[12:15], v18 offset:11008
	s_waitcnt lgkmcnt(2)
	v_dot2_f32_f16 v32, v0, v4, v32
	v_dot2_f32_f16 v36, v0, v5, v36
	;; [unrolled: 1-line block ×16, first 2 shown]
	s_waitcnt lgkmcnt(1)
	v_dot2_f32_f16 v55, v0, v8, v55
	v_dot2_f32_f16 v56, v0, v9, v56
	;; [unrolled: 1-line block ×16, first 2 shown]
	ds_read_b128 v[0:3], v18 offset:11264
	s_waitcnt lgkmcnt(1)
	v_dot2_f32_f16 v63, v12, v4, v63
	v_dot2_f32_f16 v64, v12, v5, v64
	;; [unrolled: 1-line block ×16, first 2 shown]
	ds_read_b128 v[4:7], v19 offset:27648
	v_dot2_f32_f16 v75, v12, v8, v75
	v_dot2_f32_f16 v76, v12, v9, v76
	;; [unrolled: 1-line block ×16, first 2 shown]
	ds_read_b128 v[8:11], v19 offset:27904
	ds_read_b128 v[12:15], v18 offset:11520
	s_waitcnt lgkmcnt(2)
	v_dot2_f32_f16 v32, v0, v4, v32
	v_dot2_f32_f16 v36, v0, v5, v36
	;; [unrolled: 1-line block ×16, first 2 shown]
	s_waitcnt lgkmcnt(1)
	v_dot2_f32_f16 v55, v0, v8, v55
	v_dot2_f32_f16 v56, v0, v9, v56
	;; [unrolled: 1-line block ×16, first 2 shown]
	ds_read_b128 v[0:3], v18 offset:11776
	s_waitcnt lgkmcnt(1)
	v_dot2_f32_f16 v63, v12, v4, v63
	v_dot2_f32_f16 v64, v12, v5, v64
	;; [unrolled: 1-line block ×16, first 2 shown]
	ds_read_b128 v[4:7], v19 offset:28160
	v_dot2_f32_f16 v75, v12, v8, v75
	v_dot2_f32_f16 v76, v12, v9, v76
	;; [unrolled: 1-line block ×16, first 2 shown]
	ds_read_b128 v[8:11], v19 offset:28416
	ds_read_b128 v[12:15], v18 offset:12032
	s_waitcnt lgkmcnt(2)
	v_dot2_f32_f16 v32, v0, v4, v32
	v_dot2_f32_f16 v36, v0, v5, v36
	;; [unrolled: 1-line block ×16, first 2 shown]
	s_waitcnt lgkmcnt(1)
	v_dot2_f32_f16 v55, v0, v8, v55
	v_dot2_f32_f16 v56, v0, v9, v56
	;; [unrolled: 1-line block ×16, first 2 shown]
	ds_read_b128 v[0:3], v18 offset:12288
	s_waitcnt lgkmcnt(1)
	v_dot2_f32_f16 v63, v12, v4, v63
	v_dot2_f32_f16 v64, v12, v5, v64
	;; [unrolled: 1-line block ×16, first 2 shown]
	ds_read_b128 v[4:7], v19 offset:28672
	v_dot2_f32_f16 v75, v12, v8, v75
	v_dot2_f32_f16 v76, v12, v9, v76
	;; [unrolled: 1-line block ×16, first 2 shown]
	ds_read_b128 v[8:11], v19 offset:28928
	ds_read_b128 v[12:15], v18 offset:12544
	s_waitcnt lgkmcnt(2)
	v_dot2_f32_f16 v32, v0, v4, v32
	v_dot2_f32_f16 v36, v0, v5, v36
	;; [unrolled: 1-line block ×16, first 2 shown]
	s_waitcnt lgkmcnt(1)
	v_dot2_f32_f16 v55, v0, v8, v55
	v_dot2_f32_f16 v56, v0, v9, v56
	v_dot2_f32_f16 v57, v0, v10, v57
	v_dot2_f32_f16 v21, v0, v11, v21
	v_dot2_f32_f16 v58, v1, v8, v58
	v_dot2_f32_f16 v59, v1, v9, v59
	v_dot2_f32_f16 v60, v1, v10, v60
	v_dot2_f32_f16 v22, v1, v11, v22
	v_dot2_f32_f16 v61, v2, v8, v61
	v_dot2_f32_f16 v62, v2, v9, v62
	v_dot2_f32_f16 v37, v2, v10, v37
	v_dot2_f32_f16 v23, v2, v11, v23
	v_dot2_f32_f16 v38, v3, v8, v38
	v_dot2_f32_f16 v39, v3, v9, v39
	v_dot2_f32_f16 v40, v3, v10, v40
	v_dot2_f32_f16 v24, v3, v11, v24
	ds_read_b128 v[0:3], v18 offset:12800
	s_waitcnt lgkmcnt(1)
	v_dot2_f32_f16 v63, v12, v4, v63
	v_dot2_f32_f16 v64, v12, v5, v64
	;; [unrolled: 1-line block ×16, first 2 shown]
	ds_read_b128 v[4:7], v19 offset:29184
	v_dot2_f32_f16 v75, v12, v8, v75
	v_dot2_f32_f16 v76, v12, v9, v76
	;; [unrolled: 1-line block ×16, first 2 shown]
	ds_read_b128 v[8:11], v19 offset:29440
	ds_read_b128 v[12:15], v18 offset:13056
	s_waitcnt lgkmcnt(2)
	v_dot2_f32_f16 v32, v0, v4, v32
	v_dot2_f32_f16 v36, v0, v5, v36
	;; [unrolled: 1-line block ×16, first 2 shown]
	s_waitcnt lgkmcnt(1)
	v_dot2_f32_f16 v55, v0, v8, v55
	v_dot2_f32_f16 v56, v0, v9, v56
	;; [unrolled: 1-line block ×16, first 2 shown]
	ds_read_b128 v[0:3], v18 offset:13312
	s_waitcnt lgkmcnt(1)
	v_dot2_f32_f16 v63, v12, v4, v63
	v_dot2_f32_f16 v64, v12, v5, v64
	;; [unrolled: 1-line block ×16, first 2 shown]
	ds_read_b128 v[4:7], v19 offset:29696
	v_dot2_f32_f16 v75, v12, v8, v75
	v_dot2_f32_f16 v76, v12, v9, v76
	;; [unrolled: 1-line block ×16, first 2 shown]
	ds_read_b128 v[8:11], v19 offset:29952
	ds_read_b128 v[12:15], v18 offset:13568
	s_waitcnt lgkmcnt(2)
	v_dot2_f32_f16 v32, v0, v4, v32
	v_dot2_f32_f16 v36, v0, v5, v36
	;; [unrolled: 1-line block ×16, first 2 shown]
	s_waitcnt lgkmcnt(1)
	v_dot2_f32_f16 v55, v0, v8, v55
	v_dot2_f32_f16 v56, v0, v9, v56
	;; [unrolled: 1-line block ×16, first 2 shown]
	ds_read_b128 v[0:3], v18 offset:13824
	s_waitcnt lgkmcnt(1)
	v_dot2_f32_f16 v63, v12, v4, v63
	v_dot2_f32_f16 v64, v12, v5, v64
	;; [unrolled: 1-line block ×16, first 2 shown]
	ds_read_b128 v[4:7], v19 offset:30208
	v_dot2_f32_f16 v75, v12, v8, v75
	v_dot2_f32_f16 v76, v12, v9, v76
	v_dot2_f32_f16 v77, v12, v10, v77
	v_dot2_f32_f16 v33, v12, v11, v33
	v_dot2_f32_f16 v78, v13, v8, v78
	v_dot2_f32_f16 v79, v13, v9, v79
	v_dot2_f32_f16 v80, v13, v10, v80
	v_dot2_f32_f16 v34, v13, v11, v34
	v_dot2_f32_f16 v81, v14, v8, v81
	v_dot2_f32_f16 v82, v14, v9, v82
	v_dot2_f32_f16 v83, v14, v10, v83
	v_dot2_f32_f16 v35, v14, v11, v35
	v_dot2_f32_f16 v29, v15, v8, v29
	v_dot2_f32_f16 v30, v15, v9, v30
	v_dot2_f32_f16 v20, v15, v10, v20
	v_dot2_f32_f16 v31, v15, v11, v31
	ds_read_b128 v[8:11], v19 offset:30464
	ds_read_b128 v[12:15], v18 offset:14080
	s_waitcnt lgkmcnt(2)
	v_dot2_f32_f16 v32, v0, v4, v32
	v_dot2_f32_f16 v36, v0, v5, v36
	;; [unrolled: 1-line block ×16, first 2 shown]
	s_waitcnt lgkmcnt(1)
	v_dot2_f32_f16 v55, v0, v8, v55
	v_dot2_f32_f16 v56, v0, v9, v56
	;; [unrolled: 1-line block ×16, first 2 shown]
	ds_read_b128 v[0:3], v18 offset:14336
	s_waitcnt lgkmcnt(1)
	v_dot2_f32_f16 v63, v12, v4, v63
	v_dot2_f32_f16 v64, v12, v5, v64
	v_dot2_f32_f16 v65, v12, v6, v65
	v_dot2_f32_f16 v66, v12, v7, v66
	v_dot2_f32_f16 v67, v13, v4, v67
	v_dot2_f32_f16 v68, v13, v5, v68
	v_dot2_f32_f16 v69, v13, v6, v69
	v_dot2_f32_f16 v70, v13, v7, v70
	v_dot2_f32_f16 v71, v14, v4, v71
	v_dot2_f32_f16 v72, v14, v5, v72
	v_dot2_f32_f16 v73, v14, v6, v73
	v_dot2_f32_f16 v74, v14, v7, v74
	v_dot2_f32_f16 v25, v15, v4, v25
	v_dot2_f32_f16 v26, v15, v5, v26
	v_dot2_f32_f16 v27, v15, v6, v27
	v_dot2_f32_f16 v28, v15, v7, v28
	ds_read_b128 v[4:7], v19 offset:30720
	v_dot2_f32_f16 v75, v12, v8, v75
	v_dot2_f32_f16 v76, v12, v9, v76
	v_dot2_f32_f16 v77, v12, v10, v77
	v_dot2_f32_f16 v33, v12, v11, v33
	v_dot2_f32_f16 v78, v13, v8, v78
	v_dot2_f32_f16 v79, v13, v9, v79
	v_dot2_f32_f16 v80, v13, v10, v80
	v_dot2_f32_f16 v34, v13, v11, v34
	v_dot2_f32_f16 v81, v14, v8, v81
	v_dot2_f32_f16 v82, v14, v9, v82
	v_dot2_f32_f16 v83, v14, v10, v83
	v_dot2_f32_f16 v35, v14, v11, v35
	v_dot2_f32_f16 v29, v15, v8, v29
	v_dot2_f32_f16 v30, v15, v9, v30
	v_dot2_f32_f16 v20, v15, v10, v20
	v_dot2_f32_f16 v31, v15, v11, v31
	ds_read_b128 v[8:11], v19 offset:30976
	ds_read_b128 v[12:15], v18 offset:14592
	s_waitcnt lgkmcnt(2)
	v_dot2_f32_f16 v32, v0, v4, v32
	v_dot2_f32_f16 v36, v0, v5, v36
	;; [unrolled: 1-line block ×16, first 2 shown]
	s_waitcnt lgkmcnt(1)
	v_dot2_f32_f16 v55, v0, v8, v55
	v_dot2_f32_f16 v56, v0, v9, v56
	;; [unrolled: 1-line block ×16, first 2 shown]
	ds_read_b128 v[0:3], v18 offset:14848
	s_waitcnt lgkmcnt(1)
	v_dot2_f32_f16 v63, v12, v4, v63
	v_dot2_f32_f16 v64, v12, v5, v64
	;; [unrolled: 1-line block ×16, first 2 shown]
	ds_read_b128 v[4:7], v19 offset:31232
	v_dot2_f32_f16 v75, v12, v8, v75
	v_dot2_f32_f16 v76, v12, v9, v76
	;; [unrolled: 1-line block ×16, first 2 shown]
	ds_read_b128 v[8:11], v19 offset:31488
	ds_read_b128 v[12:15], v18 offset:15104
	s_waitcnt lgkmcnt(2)
	v_dot2_f32_f16 v32, v0, v4, v32
	v_dot2_f32_f16 v36, v0, v5, v36
	;; [unrolled: 1-line block ×16, first 2 shown]
	s_waitcnt lgkmcnt(1)
	v_dot2_f32_f16 v55, v0, v8, v55
	v_dot2_f32_f16 v56, v0, v9, v56
	;; [unrolled: 1-line block ×16, first 2 shown]
	ds_read_b128 v[0:3], v18 offset:15360
	s_waitcnt lgkmcnt(1)
	v_dot2_f32_f16 v63, v12, v4, v63
	v_dot2_f32_f16 v64, v12, v5, v64
	;; [unrolled: 1-line block ×16, first 2 shown]
	ds_read_b128 v[4:7], v19 offset:31744
	v_dot2_f32_f16 v75, v12, v8, v75
	v_dot2_f32_f16 v76, v12, v9, v76
	;; [unrolled: 1-line block ×16, first 2 shown]
	ds_read_b128 v[8:11], v19 offset:32000
	ds_read_b128 v[12:15], v18 offset:15616
	s_waitcnt lgkmcnt(2)
	v_dot2_f32_f16 v32, v0, v4, v32
	v_dot2_f32_f16 v36, v0, v5, v36
	;; [unrolled: 1-line block ×16, first 2 shown]
	s_waitcnt lgkmcnt(1)
	v_dot2_f32_f16 v55, v0, v8, v55
	v_dot2_f32_f16 v56, v0, v9, v56
	;; [unrolled: 1-line block ×16, first 2 shown]
	ds_read_b128 v[0:3], v18 offset:15872
	s_waitcnt lgkmcnt(1)
	v_dot2_f32_f16 v63, v12, v4, v63
	v_dot2_f32_f16 v64, v12, v5, v64
	;; [unrolled: 1-line block ×16, first 2 shown]
	ds_read_b128 v[4:7], v19 offset:32256
	v_dot2_f32_f16 v75, v12, v8, v75
	v_dot2_f32_f16 v76, v12, v9, v76
	;; [unrolled: 1-line block ×16, first 2 shown]
	ds_read_b128 v[8:11], v19 offset:32512
	ds_read_b128 v[12:15], v18 offset:16128
	s_waitcnt lgkmcnt(2)
	v_dot2_f32_f16 v18, v0, v4, v32
	v_dot2_f32_f16 v19, v0, v5, v36
	;; [unrolled: 1-line block ×16, first 2 shown]
	s_waitcnt lgkmcnt(1)
	v_dot2_f32_f16 v53, v0, v8, v55
	v_dot2_f32_f16 v54, v0, v9, v56
	v_dot2_f32_f16 v55, v0, v10, v57
	v_dot2_f32_f16 v21, v0, v11, v21
	v_or_b32_e32 v0, s17, v17
	v_dot2_f32_f16 v56, v1, v8, v58
	v_dot2_f32_f16 v57, v1, v9, v59
	;; [unrolled: 1-line block ×4, first 2 shown]
	v_mul_lo_u32 v0, v0, s16
	v_cvt_f16_f32_e32 v17, v18
	v_cvt_f16_f32_e32 v1, v32
	;; [unrolled: 1-line block ×4, first 2 shown]
	v_dot2_f32_f16 v59, v2, v8, v61
	v_dot2_f32_f16 v60, v2, v9, v62
	;; [unrolled: 1-line block ×8, first 2 shown]
	s_waitcnt lgkmcnt(0)
	v_dot2_f32_f16 v24, v12, v4, v63
	v_dot2_f32_f16 v40, v12, v5, v64
	;; [unrolled: 1-line block ×32, first 2 shown]
	v_add3_u32 v15, s3, v16, v0
	v_pack_b32_f16 v1, v1, v18
	v_pack_b32_f16 v0, v17, v19
	v_cvt_f16_f32_e32 v17, v53
	v_cvt_f16_f32_e32 v18, v55
	;; [unrolled: 1-line block ×4, first 2 shown]
	s_mov_b32 s3, s7
	v_lshlrev_b32_e32 v16, 1, v15
	buffer_store_dwordx2 v[0:1], v16, s[0:3], 0 offen
	v_pack_b32_f16 v1, v18, v19
	v_pack_b32_f16 v0, v17, v20
	v_cvt_f16_f32_e32 v17, v56
	v_cvt_f16_f32_e32 v18, v58
	;; [unrolled: 1-line block ×4, first 2 shown]
	v_add_u32_e32 v16, 64, v15
	v_lshlrev_b32_e32 v21, 1, v16
	buffer_store_dwordx2 v[0:1], v21, s[0:3], 0 offen
	v_pack_b32_f16 v1, v18, v19
	v_pack_b32_f16 v0, v17, v20
	v_cvt_f16_f32_e32 v17, v41
	v_cvt_f16_f32_e32 v18, v43
	;; [unrolled: 1-line block ×4, first 2 shown]
	v_add_lshl_u32 v16, v16, s16, 1
	buffer_store_dwordx2 v[0:1], v16, s[0:3], 0 offen
	v_pack_b32_f16 v1, v18, v19
	v_pack_b32_f16 v0, v17, v20
	v_cvt_f16_f32_e32 v17, v45
	v_cvt_f16_f32_e32 v18, v47
	v_cvt_f16_f32_e32 v19, v48
	v_cvt_f16_f32_e32 v20, v46
	v_add_u32_e32 v15, s16, v15
	v_lshlrev_b32_e32 v16, 1, v15
	buffer_store_dwordx2 v[0:1], v16, s[0:3], 0 offen
	v_pack_b32_f16 v1, v18, v19
	v_pack_b32_f16 v0, v17, v20
	v_cvt_f16_f32_e32 v17, v59
	v_cvt_f16_f32_e32 v18, v37
	v_cvt_f16_f32_e32 v2, v2
	v_cvt_f16_f32_e32 v19, v60
	v_add_u32_e32 v15, s16, v15
	v_lshlrev_b32_e32 v16, 1, v15
	;; [unrolled: 9-line block ×3, first 2 shown]
	buffer_store_dwordx2 v[0:1], v19, s[0:3], 0 offen
	v_pack_b32_f16 v1, v17, v3
	v_pack_b32_f16 v0, v2, v18
	v_add_lshl_u32 v2, v16, s16, 1
	v_cvt_f16_f32_e32 v3, v49
	v_cvt_f16_f32_e32 v16, v51
	;; [unrolled: 1-line block ×8, first 2 shown]
	buffer_store_dwordx2 v[0:1], v2, s[0:3], 0 offen
	v_add_u32_e32 v2, s16, v15
	v_pack_b32_f16 v1, v16, v17
	v_pack_b32_f16 v0, v3, v18
	v_lshlrev_b32_e32 v3, 1, v2
	buffer_store_dwordx2 v[0:1], v3, s[0:3], 0 offen
	v_pack_b32_f16 v1, v6, v7
	v_pack_b32_f16 v0, v4, v5
	v_cvt_f16_f32_e32 v4, v8
	v_cvt_f16_f32_e32 v5, v10
	;; [unrolled: 1-line block ×4, first 2 shown]
	v_lshl_add_u32 v2, s16, 6, v2
	v_lshlrev_b32_e32 v3, 1, v2
	buffer_store_dwordx2 v[0:1], v3, s[0:3], 0 offen
	v_pack_b32_f16 v1, v5, v6
	v_pack_b32_f16 v0, v4, v7
	v_cvt_f16_f32_e32 v4, v34
	v_cvt_f16_f32_e32 v5, v73
	;; [unrolled: 1-line block ×4, first 2 shown]
	v_add_u32_e32 v2, 64, v2
	v_lshlrev_b32_e32 v3, 1, v2
	buffer_store_dwordx2 v[0:1], v3, s[0:3], 0 offen
	v_pack_b32_f16 v1, v5, v6
	v_pack_b32_f16 v0, v4, v7
	v_cvt_f16_f32_e32 v4, v67
	v_cvt_f16_f32_e32 v5, v69
	v_cvt_f16_f32_e32 v6, v70
	v_cvt_f16_f32_e32 v7, v68
	v_subrev_u32_e32 v2, s16, v2
	v_lshlrev_b32_e32 v3, 1, v2
	buffer_store_dwordx2 v[0:1], v3, s[0:3], 0 offen
	v_pack_b32_f16 v1, v5, v6
	v_pack_b32_f16 v0, v4, v7
	v_cvt_f16_f32_e32 v4, v63
	v_cvt_f16_f32_e32 v5, v65
	v_cvt_f16_f32_e32 v6, v66
	v_cvt_f16_f32_e32 v7, v64
	v_subrev_u32_e32 v2, 64, v2
	v_lshlrev_b32_e32 v3, 1, v2
	buffer_store_dwordx2 v[0:1], v3, s[0:3], 0 offen
	v_pack_b32_f16 v1, v5, v6
	v_pack_b32_f16 v0, v4, v7
	v_cvt_f16_f32_e32 v4, v28
	v_cvt_f16_f32_e32 v5, v71
	v_cvt_f16_f32_e32 v6, v13
	v_cvt_f16_f32_e32 v7, v33
	v_subrev_u32_e32 v2, s16, v2
	v_lshlrev_b32_e32 v3, 1, v2
	buffer_store_dwordx2 v[0:1], v3, s[0:3], 0 offen
	v_pack_b32_f16 v1, v5, v6
	v_pack_b32_f16 v0, v4, v7
	v_cvt_f16_f32_e32 v4, v25
	v_cvt_f16_f32_e32 v5, v27
	;; [unrolled: 1-line block ×4, first 2 shown]
	v_add_u32_e32 v2, 64, v2
	v_lshlrev_b32_e32 v3, 1, v2
	buffer_store_dwordx2 v[0:1], v3, s[0:3], 0 offen
	v_pack_b32_f16 v1, v5, v6
	v_pack_b32_f16 v0, v4, v7
	v_cvt_f16_f32_e32 v3, v24
	v_cvt_f16_f32_e32 v4, v61
	;; [unrolled: 1-line block ×4, first 2 shown]
	v_subrev_u32_e32 v2, s16, v2
	v_lshlrev_b32_e32 v2, 1, v2
	buffer_store_dwordx2 v[0:1], v2, s[0:3], 0 offen
	v_pack_b32_f16 v1, v4, v5
	v_pack_b32_f16 v0, v3, v6
	v_add_u32_e32 v2, 0xffffff80, v2
	buffer_store_dwordx2 v[0:1], v2, s[0:3], 0 offen
	s_endpgm
	.section	.rodata,"a",@progbits
	.p2align	6, 0x0
	.amdhsa_kernel _ZN2ck19kernel_gemm_dl_v1r3INS_28GridwiseGemmDl_km_kn_mn_v1r3ILi256EDF16_fDF16_LNS_25InMemoryDataOperationEnumE0ENS_16TensorDescriptorINS_5TupleIJNS_5EmbedINS4_IJiiEEENS4_IJNS_17integral_constantIiLi1EEEiEEELb0EEENS_7UnMergeINS4_IJiNS7_IiLi2EEEEEELb0EEENS_11PassThroughIiEEEEENS4_IJNS_8SequenceIJLi0EEEENSI_IJLi2EEEENSI_IJLi1EEEEEEENS4_IJNSI_IJLi1ELi2EEEENSI_IJLi3ELi4EEEENSI_IJLi5EEEEEEENSI_IJLi3ELi5ELi4EEEElEENS3_INS4_IJNS5_IS6_NS4_IJiS8_EEELb0EEESE_SG_EEENS4_IJSJ_SL_SK_EEESQ_SR_lEENS3_INS4_IJSU_SG_SG_EEESW_NS4_IJSN_NSI_IJLi3EEEENSI_IJLi4EEEEEEESO_lEELi128ELi128ELi16ELi2ELi4ELi4ELi1ENSI_IJLi8ELi2EEEES13_NSI_IJLi2ELi1ELi4ELi2EEEENSI_IJLi8ELi1ELi32ELi1EEEENSI_IJLi0ELi3ELi1ELi2EEEES16_NSI_IJLi1ELi1ELi4ELi1EEEES16_NSI_IJLi1ELi1ELi4ELi2EEEES14_S15_S16_S16_S17_S16_S18_NSI_IJLi0ELi1ELi2ELi3ELi4ELi5EEEELi5ELi4EEEDF16_DF16_NS3_INS4_IJSA_SE_SG_SG_NSB_INS4_IJiNS7_IiLi128EEEEEELb0EEENSF_ISC_EEEEENS4_IJSJ_SK_SL_SZ_SP_S10_EEENS4_IJSN_SO_SP_NSI_IJLi6EEEENSI_IJLi7ELi8EEEENSI_IJLi9EEEEEEENSI_IJLi6ELi7ELi8ELi9EEEElEENS3_INS4_IJSU_SE_SG_SG_S1D_S1E_EEENS4_IJSJ_SL_SK_SZ_SP_S10_EEES1K_S1L_lEENS3_INS4_IJSU_SG_SG_NSB_INS4_IJiSC_NS7_IiLi64EEEEEELb0EEES1S_EEENS4_IJSJ_SL_SK_SZ_S10_EEENS4_IJSN_SZ_S10_NSI_IJLi5ELi6ELi7EEEENSI_IJLi8ELi9ELi10EEEEEEENSI_IJLi5ELi6ELi7ELi8ELi9ELi10EEEElEENS_31BlockToCTileMap_M00_N00_M01_N01ILi128ELi128ES12_Lb0EEELb0ELb1EEEvPKT0_S24_PT1_T2_T3_T4_T5_
		.amdhsa_group_segment_fixed_size 32768
		.amdhsa_private_segment_fixed_size 0
		.amdhsa_kernarg_size 328
		.amdhsa_user_sgpr_count 6
		.amdhsa_user_sgpr_private_segment_buffer 1
		.amdhsa_user_sgpr_dispatch_ptr 0
		.amdhsa_user_sgpr_queue_ptr 0
		.amdhsa_user_sgpr_kernarg_segment_ptr 1
		.amdhsa_user_sgpr_dispatch_id 0
		.amdhsa_user_sgpr_flat_scratch_init 0
		.amdhsa_user_sgpr_private_segment_size 0
		.amdhsa_uses_dynamic_stack 0
		.amdhsa_system_sgpr_private_segment_wavefront_offset 0
		.amdhsa_system_sgpr_workgroup_id_x 1
		.amdhsa_system_sgpr_workgroup_id_y 0
		.amdhsa_system_sgpr_workgroup_id_z 0
		.amdhsa_system_sgpr_workgroup_info 0
		.amdhsa_system_vgpr_workitem_id 0
		.amdhsa_next_free_vgpr 101
		.amdhsa_next_free_sgpr 98
		.amdhsa_reserve_vcc 0
		.amdhsa_reserve_flat_scratch 0
		.amdhsa_float_round_mode_32 0
		.amdhsa_float_round_mode_16_64 0
		.amdhsa_float_denorm_mode_32 3
		.amdhsa_float_denorm_mode_16_64 3
		.amdhsa_dx10_clamp 1
		.amdhsa_ieee_mode 1
		.amdhsa_fp16_overflow 0
		.amdhsa_exception_fp_ieee_invalid_op 0
		.amdhsa_exception_fp_denorm_src 0
		.amdhsa_exception_fp_ieee_div_zero 0
		.amdhsa_exception_fp_ieee_overflow 0
		.amdhsa_exception_fp_ieee_underflow 0
		.amdhsa_exception_fp_ieee_inexact 0
		.amdhsa_exception_int_div_zero 0
	.end_amdhsa_kernel
	.section	.text._ZN2ck19kernel_gemm_dl_v1r3INS_28GridwiseGemmDl_km_kn_mn_v1r3ILi256EDF16_fDF16_LNS_25InMemoryDataOperationEnumE0ENS_16TensorDescriptorINS_5TupleIJNS_5EmbedINS4_IJiiEEENS4_IJNS_17integral_constantIiLi1EEEiEEELb0EEENS_7UnMergeINS4_IJiNS7_IiLi2EEEEEELb0EEENS_11PassThroughIiEEEEENS4_IJNS_8SequenceIJLi0EEEENSI_IJLi2EEEENSI_IJLi1EEEEEEENS4_IJNSI_IJLi1ELi2EEEENSI_IJLi3ELi4EEEENSI_IJLi5EEEEEEENSI_IJLi3ELi5ELi4EEEElEENS3_INS4_IJNS5_IS6_NS4_IJiS8_EEELb0EEESE_SG_EEENS4_IJSJ_SL_SK_EEESQ_SR_lEENS3_INS4_IJSU_SG_SG_EEESW_NS4_IJSN_NSI_IJLi3EEEENSI_IJLi4EEEEEEESO_lEELi128ELi128ELi16ELi2ELi4ELi4ELi1ENSI_IJLi8ELi2EEEES13_NSI_IJLi2ELi1ELi4ELi2EEEENSI_IJLi8ELi1ELi32ELi1EEEENSI_IJLi0ELi3ELi1ELi2EEEES16_NSI_IJLi1ELi1ELi4ELi1EEEES16_NSI_IJLi1ELi1ELi4ELi2EEEES14_S15_S16_S16_S17_S16_S18_NSI_IJLi0ELi1ELi2ELi3ELi4ELi5EEEELi5ELi4EEEDF16_DF16_NS3_INS4_IJSA_SE_SG_SG_NSB_INS4_IJiNS7_IiLi128EEEEEELb0EEENSF_ISC_EEEEENS4_IJSJ_SK_SL_SZ_SP_S10_EEENS4_IJSN_SO_SP_NSI_IJLi6EEEENSI_IJLi7ELi8EEEENSI_IJLi9EEEEEEENSI_IJLi6ELi7ELi8ELi9EEEElEENS3_INS4_IJSU_SE_SG_SG_S1D_S1E_EEENS4_IJSJ_SL_SK_SZ_SP_S10_EEES1K_S1L_lEENS3_INS4_IJSU_SG_SG_NSB_INS4_IJiSC_NS7_IiLi64EEEEEELb0EEES1S_EEENS4_IJSJ_SL_SK_SZ_S10_EEENS4_IJSN_SZ_S10_NSI_IJLi5ELi6ELi7EEEENSI_IJLi8ELi9ELi10EEEEEEENSI_IJLi5ELi6ELi7ELi8ELi9ELi10EEEElEENS_31BlockToCTileMap_M00_N00_M01_N01ILi128ELi128ES12_Lb0EEELb0ELb1EEEvPKT0_S24_PT1_T2_T3_T4_T5_,"axG",@progbits,_ZN2ck19kernel_gemm_dl_v1r3INS_28GridwiseGemmDl_km_kn_mn_v1r3ILi256EDF16_fDF16_LNS_25InMemoryDataOperationEnumE0ENS_16TensorDescriptorINS_5TupleIJNS_5EmbedINS4_IJiiEEENS4_IJNS_17integral_constantIiLi1EEEiEEELb0EEENS_7UnMergeINS4_IJiNS7_IiLi2EEEEEELb0EEENS_11PassThroughIiEEEEENS4_IJNS_8SequenceIJLi0EEEENSI_IJLi2EEEENSI_IJLi1EEEEEEENS4_IJNSI_IJLi1ELi2EEEENSI_IJLi3ELi4EEEENSI_IJLi5EEEEEEENSI_IJLi3ELi5ELi4EEEElEENS3_INS4_IJNS5_IS6_NS4_IJiS8_EEELb0EEESE_SG_EEENS4_IJSJ_SL_SK_EEESQ_SR_lEENS3_INS4_IJSU_SG_SG_EEESW_NS4_IJSN_NSI_IJLi3EEEENSI_IJLi4EEEEEEESO_lEELi128ELi128ELi16ELi2ELi4ELi4ELi1ENSI_IJLi8ELi2EEEES13_NSI_IJLi2ELi1ELi4ELi2EEEENSI_IJLi8ELi1ELi32ELi1EEEENSI_IJLi0ELi3ELi1ELi2EEEES16_NSI_IJLi1ELi1ELi4ELi1EEEES16_NSI_IJLi1ELi1ELi4ELi2EEEES14_S15_S16_S16_S17_S16_S18_NSI_IJLi0ELi1ELi2ELi3ELi4ELi5EEEELi5ELi4EEEDF16_DF16_NS3_INS4_IJSA_SE_SG_SG_NSB_INS4_IJiNS7_IiLi128EEEEEELb0EEENSF_ISC_EEEEENS4_IJSJ_SK_SL_SZ_SP_S10_EEENS4_IJSN_SO_SP_NSI_IJLi6EEEENSI_IJLi7ELi8EEEENSI_IJLi9EEEEEEENSI_IJLi6ELi7ELi8ELi9EEEElEENS3_INS4_IJSU_SE_SG_SG_S1D_S1E_EEENS4_IJSJ_SL_SK_SZ_SP_S10_EEES1K_S1L_lEENS3_INS4_IJSU_SG_SG_NSB_INS4_IJiSC_NS7_IiLi64EEEEEELb0EEES1S_EEENS4_IJSJ_SL_SK_SZ_S10_EEENS4_IJSN_SZ_S10_NSI_IJLi5ELi6ELi7EEEENSI_IJLi8ELi9ELi10EEEEEEENSI_IJLi5ELi6ELi7ELi8ELi9ELi10EEEElEENS_31BlockToCTileMap_M00_N00_M01_N01ILi128ELi128ES12_Lb0EEELb0ELb1EEEvPKT0_S24_PT1_T2_T3_T4_T5_,comdat
.Lfunc_end3:
	.size	_ZN2ck19kernel_gemm_dl_v1r3INS_28GridwiseGemmDl_km_kn_mn_v1r3ILi256EDF16_fDF16_LNS_25InMemoryDataOperationEnumE0ENS_16TensorDescriptorINS_5TupleIJNS_5EmbedINS4_IJiiEEENS4_IJNS_17integral_constantIiLi1EEEiEEELb0EEENS_7UnMergeINS4_IJiNS7_IiLi2EEEEEELb0EEENS_11PassThroughIiEEEEENS4_IJNS_8SequenceIJLi0EEEENSI_IJLi2EEEENSI_IJLi1EEEEEEENS4_IJNSI_IJLi1ELi2EEEENSI_IJLi3ELi4EEEENSI_IJLi5EEEEEEENSI_IJLi3ELi5ELi4EEEElEENS3_INS4_IJNS5_IS6_NS4_IJiS8_EEELb0EEESE_SG_EEENS4_IJSJ_SL_SK_EEESQ_SR_lEENS3_INS4_IJSU_SG_SG_EEESW_NS4_IJSN_NSI_IJLi3EEEENSI_IJLi4EEEEEEESO_lEELi128ELi128ELi16ELi2ELi4ELi4ELi1ENSI_IJLi8ELi2EEEES13_NSI_IJLi2ELi1ELi4ELi2EEEENSI_IJLi8ELi1ELi32ELi1EEEENSI_IJLi0ELi3ELi1ELi2EEEES16_NSI_IJLi1ELi1ELi4ELi1EEEES16_NSI_IJLi1ELi1ELi4ELi2EEEES14_S15_S16_S16_S17_S16_S18_NSI_IJLi0ELi1ELi2ELi3ELi4ELi5EEEELi5ELi4EEEDF16_DF16_NS3_INS4_IJSA_SE_SG_SG_NSB_INS4_IJiNS7_IiLi128EEEEEELb0EEENSF_ISC_EEEEENS4_IJSJ_SK_SL_SZ_SP_S10_EEENS4_IJSN_SO_SP_NSI_IJLi6EEEENSI_IJLi7ELi8EEEENSI_IJLi9EEEEEEENSI_IJLi6ELi7ELi8ELi9EEEElEENS3_INS4_IJSU_SE_SG_SG_S1D_S1E_EEENS4_IJSJ_SL_SK_SZ_SP_S10_EEES1K_S1L_lEENS3_INS4_IJSU_SG_SG_NSB_INS4_IJiSC_NS7_IiLi64EEEEEELb0EEES1S_EEENS4_IJSJ_SL_SK_SZ_S10_EEENS4_IJSN_SZ_S10_NSI_IJLi5ELi6ELi7EEEENSI_IJLi8ELi9ELi10EEEEEEENSI_IJLi5ELi6ELi7ELi8ELi9ELi10EEEElEENS_31BlockToCTileMap_M00_N00_M01_N01ILi128ELi128ES12_Lb0EEELb0ELb1EEEvPKT0_S24_PT1_T2_T3_T4_T5_, .Lfunc_end3-_ZN2ck19kernel_gemm_dl_v1r3INS_28GridwiseGemmDl_km_kn_mn_v1r3ILi256EDF16_fDF16_LNS_25InMemoryDataOperationEnumE0ENS_16TensorDescriptorINS_5TupleIJNS_5EmbedINS4_IJiiEEENS4_IJNS_17integral_constantIiLi1EEEiEEELb0EEENS_7UnMergeINS4_IJiNS7_IiLi2EEEEEELb0EEENS_11PassThroughIiEEEEENS4_IJNS_8SequenceIJLi0EEEENSI_IJLi2EEEENSI_IJLi1EEEEEEENS4_IJNSI_IJLi1ELi2EEEENSI_IJLi3ELi4EEEENSI_IJLi5EEEEEEENSI_IJLi3ELi5ELi4EEEElEENS3_INS4_IJNS5_IS6_NS4_IJiS8_EEELb0EEESE_SG_EEENS4_IJSJ_SL_SK_EEESQ_SR_lEENS3_INS4_IJSU_SG_SG_EEESW_NS4_IJSN_NSI_IJLi3EEEENSI_IJLi4EEEEEEESO_lEELi128ELi128ELi16ELi2ELi4ELi4ELi1ENSI_IJLi8ELi2EEEES13_NSI_IJLi2ELi1ELi4ELi2EEEENSI_IJLi8ELi1ELi32ELi1EEEENSI_IJLi0ELi3ELi1ELi2EEEES16_NSI_IJLi1ELi1ELi4ELi1EEEES16_NSI_IJLi1ELi1ELi4ELi2EEEES14_S15_S16_S16_S17_S16_S18_NSI_IJLi0ELi1ELi2ELi3ELi4ELi5EEEELi5ELi4EEEDF16_DF16_NS3_INS4_IJSA_SE_SG_SG_NSB_INS4_IJiNS7_IiLi128EEEEEELb0EEENSF_ISC_EEEEENS4_IJSJ_SK_SL_SZ_SP_S10_EEENS4_IJSN_SO_SP_NSI_IJLi6EEEENSI_IJLi7ELi8EEEENSI_IJLi9EEEEEEENSI_IJLi6ELi7ELi8ELi9EEEElEENS3_INS4_IJSU_SE_SG_SG_S1D_S1E_EEENS4_IJSJ_SL_SK_SZ_SP_S10_EEES1K_S1L_lEENS3_INS4_IJSU_SG_SG_NSB_INS4_IJiSC_NS7_IiLi64EEEEEELb0EEES1S_EEENS4_IJSJ_SL_SK_SZ_S10_EEENS4_IJSN_SZ_S10_NSI_IJLi5ELi6ELi7EEEENSI_IJLi8ELi9ELi10EEEEEEENSI_IJLi5ELi6ELi7ELi8ELi9ELi10EEEElEENS_31BlockToCTileMap_M00_N00_M01_N01ILi128ELi128ES12_Lb0EEELb0ELb1EEEvPKT0_S24_PT1_T2_T3_T4_T5_
                                        ; -- End function
	.set _ZN2ck19kernel_gemm_dl_v1r3INS_28GridwiseGemmDl_km_kn_mn_v1r3ILi256EDF16_fDF16_LNS_25InMemoryDataOperationEnumE0ENS_16TensorDescriptorINS_5TupleIJNS_5EmbedINS4_IJiiEEENS4_IJNS_17integral_constantIiLi1EEEiEEELb0EEENS_7UnMergeINS4_IJiNS7_IiLi2EEEEEELb0EEENS_11PassThroughIiEEEEENS4_IJNS_8SequenceIJLi0EEEENSI_IJLi2EEEENSI_IJLi1EEEEEEENS4_IJNSI_IJLi1ELi2EEEENSI_IJLi3ELi4EEEENSI_IJLi5EEEEEEENSI_IJLi3ELi5ELi4EEEElEENS3_INS4_IJNS5_IS6_NS4_IJiS8_EEELb0EEESE_SG_EEENS4_IJSJ_SL_SK_EEESQ_SR_lEENS3_INS4_IJSU_SG_SG_EEESW_NS4_IJSN_NSI_IJLi3EEEENSI_IJLi4EEEEEEESO_lEELi128ELi128ELi16ELi2ELi4ELi4ELi1ENSI_IJLi8ELi2EEEES13_NSI_IJLi2ELi1ELi4ELi2EEEENSI_IJLi8ELi1ELi32ELi1EEEENSI_IJLi0ELi3ELi1ELi2EEEES16_NSI_IJLi1ELi1ELi4ELi1EEEES16_NSI_IJLi1ELi1ELi4ELi2EEEES14_S15_S16_S16_S17_S16_S18_NSI_IJLi0ELi1ELi2ELi3ELi4ELi5EEEELi5ELi4EEEDF16_DF16_NS3_INS4_IJSA_SE_SG_SG_NSB_INS4_IJiNS7_IiLi128EEEEEELb0EEENSF_ISC_EEEEENS4_IJSJ_SK_SL_SZ_SP_S10_EEENS4_IJSN_SO_SP_NSI_IJLi6EEEENSI_IJLi7ELi8EEEENSI_IJLi9EEEEEEENSI_IJLi6ELi7ELi8ELi9EEEElEENS3_INS4_IJSU_SE_SG_SG_S1D_S1E_EEENS4_IJSJ_SL_SK_SZ_SP_S10_EEES1K_S1L_lEENS3_INS4_IJSU_SG_SG_NSB_INS4_IJiSC_NS7_IiLi64EEEEEELb0EEES1S_EEENS4_IJSJ_SL_SK_SZ_S10_EEENS4_IJSN_SZ_S10_NSI_IJLi5ELi6ELi7EEEENSI_IJLi8ELi9ELi10EEEEEEENSI_IJLi5ELi6ELi7ELi8ELi9ELi10EEEElEENS_31BlockToCTileMap_M00_N00_M01_N01ILi128ELi128ES12_Lb0EEELb0ELb1EEEvPKT0_S24_PT1_T2_T3_T4_T5_.num_vgpr, 101
	.set _ZN2ck19kernel_gemm_dl_v1r3INS_28GridwiseGemmDl_km_kn_mn_v1r3ILi256EDF16_fDF16_LNS_25InMemoryDataOperationEnumE0ENS_16TensorDescriptorINS_5TupleIJNS_5EmbedINS4_IJiiEEENS4_IJNS_17integral_constantIiLi1EEEiEEELb0EEENS_7UnMergeINS4_IJiNS7_IiLi2EEEEEELb0EEENS_11PassThroughIiEEEEENS4_IJNS_8SequenceIJLi0EEEENSI_IJLi2EEEENSI_IJLi1EEEEEEENS4_IJNSI_IJLi1ELi2EEEENSI_IJLi3ELi4EEEENSI_IJLi5EEEEEEENSI_IJLi3ELi5ELi4EEEElEENS3_INS4_IJNS5_IS6_NS4_IJiS8_EEELb0EEESE_SG_EEENS4_IJSJ_SL_SK_EEESQ_SR_lEENS3_INS4_IJSU_SG_SG_EEESW_NS4_IJSN_NSI_IJLi3EEEENSI_IJLi4EEEEEEESO_lEELi128ELi128ELi16ELi2ELi4ELi4ELi1ENSI_IJLi8ELi2EEEES13_NSI_IJLi2ELi1ELi4ELi2EEEENSI_IJLi8ELi1ELi32ELi1EEEENSI_IJLi0ELi3ELi1ELi2EEEES16_NSI_IJLi1ELi1ELi4ELi1EEEES16_NSI_IJLi1ELi1ELi4ELi2EEEES14_S15_S16_S16_S17_S16_S18_NSI_IJLi0ELi1ELi2ELi3ELi4ELi5EEEELi5ELi4EEEDF16_DF16_NS3_INS4_IJSA_SE_SG_SG_NSB_INS4_IJiNS7_IiLi128EEEEEELb0EEENSF_ISC_EEEEENS4_IJSJ_SK_SL_SZ_SP_S10_EEENS4_IJSN_SO_SP_NSI_IJLi6EEEENSI_IJLi7ELi8EEEENSI_IJLi9EEEEEEENSI_IJLi6ELi7ELi8ELi9EEEElEENS3_INS4_IJSU_SE_SG_SG_S1D_S1E_EEENS4_IJSJ_SL_SK_SZ_SP_S10_EEES1K_S1L_lEENS3_INS4_IJSU_SG_SG_NSB_INS4_IJiSC_NS7_IiLi64EEEEEELb0EEES1S_EEENS4_IJSJ_SL_SK_SZ_S10_EEENS4_IJSN_SZ_S10_NSI_IJLi5ELi6ELi7EEEENSI_IJLi8ELi9ELi10EEEEEEENSI_IJLi5ELi6ELi7ELi8ELi9ELi10EEEElEENS_31BlockToCTileMap_M00_N00_M01_N01ILi128ELi128ES12_Lb0EEELb0ELb1EEEvPKT0_S24_PT1_T2_T3_T4_T5_.num_agpr, 0
	.set _ZN2ck19kernel_gemm_dl_v1r3INS_28GridwiseGemmDl_km_kn_mn_v1r3ILi256EDF16_fDF16_LNS_25InMemoryDataOperationEnumE0ENS_16TensorDescriptorINS_5TupleIJNS_5EmbedINS4_IJiiEEENS4_IJNS_17integral_constantIiLi1EEEiEEELb0EEENS_7UnMergeINS4_IJiNS7_IiLi2EEEEEELb0EEENS_11PassThroughIiEEEEENS4_IJNS_8SequenceIJLi0EEEENSI_IJLi2EEEENSI_IJLi1EEEEEEENS4_IJNSI_IJLi1ELi2EEEENSI_IJLi3ELi4EEEENSI_IJLi5EEEEEEENSI_IJLi3ELi5ELi4EEEElEENS3_INS4_IJNS5_IS6_NS4_IJiS8_EEELb0EEESE_SG_EEENS4_IJSJ_SL_SK_EEESQ_SR_lEENS3_INS4_IJSU_SG_SG_EEESW_NS4_IJSN_NSI_IJLi3EEEENSI_IJLi4EEEEEEESO_lEELi128ELi128ELi16ELi2ELi4ELi4ELi1ENSI_IJLi8ELi2EEEES13_NSI_IJLi2ELi1ELi4ELi2EEEENSI_IJLi8ELi1ELi32ELi1EEEENSI_IJLi0ELi3ELi1ELi2EEEES16_NSI_IJLi1ELi1ELi4ELi1EEEES16_NSI_IJLi1ELi1ELi4ELi2EEEES14_S15_S16_S16_S17_S16_S18_NSI_IJLi0ELi1ELi2ELi3ELi4ELi5EEEELi5ELi4EEEDF16_DF16_NS3_INS4_IJSA_SE_SG_SG_NSB_INS4_IJiNS7_IiLi128EEEEEELb0EEENSF_ISC_EEEEENS4_IJSJ_SK_SL_SZ_SP_S10_EEENS4_IJSN_SO_SP_NSI_IJLi6EEEENSI_IJLi7ELi8EEEENSI_IJLi9EEEEEEENSI_IJLi6ELi7ELi8ELi9EEEElEENS3_INS4_IJSU_SE_SG_SG_S1D_S1E_EEENS4_IJSJ_SL_SK_SZ_SP_S10_EEES1K_S1L_lEENS3_INS4_IJSU_SG_SG_NSB_INS4_IJiSC_NS7_IiLi64EEEEEELb0EEES1S_EEENS4_IJSJ_SL_SK_SZ_S10_EEENS4_IJSN_SZ_S10_NSI_IJLi5ELi6ELi7EEEENSI_IJLi8ELi9ELi10EEEEEEENSI_IJLi5ELi6ELi7ELi8ELi9ELi10EEEElEENS_31BlockToCTileMap_M00_N00_M01_N01ILi128ELi128ES12_Lb0EEELb0ELb1EEEvPKT0_S24_PT1_T2_T3_T4_T5_.numbered_sgpr, 29
	.set _ZN2ck19kernel_gemm_dl_v1r3INS_28GridwiseGemmDl_km_kn_mn_v1r3ILi256EDF16_fDF16_LNS_25InMemoryDataOperationEnumE0ENS_16TensorDescriptorINS_5TupleIJNS_5EmbedINS4_IJiiEEENS4_IJNS_17integral_constantIiLi1EEEiEEELb0EEENS_7UnMergeINS4_IJiNS7_IiLi2EEEEEELb0EEENS_11PassThroughIiEEEEENS4_IJNS_8SequenceIJLi0EEEENSI_IJLi2EEEENSI_IJLi1EEEEEEENS4_IJNSI_IJLi1ELi2EEEENSI_IJLi3ELi4EEEENSI_IJLi5EEEEEEENSI_IJLi3ELi5ELi4EEEElEENS3_INS4_IJNS5_IS6_NS4_IJiS8_EEELb0EEESE_SG_EEENS4_IJSJ_SL_SK_EEESQ_SR_lEENS3_INS4_IJSU_SG_SG_EEESW_NS4_IJSN_NSI_IJLi3EEEENSI_IJLi4EEEEEEESO_lEELi128ELi128ELi16ELi2ELi4ELi4ELi1ENSI_IJLi8ELi2EEEES13_NSI_IJLi2ELi1ELi4ELi2EEEENSI_IJLi8ELi1ELi32ELi1EEEENSI_IJLi0ELi3ELi1ELi2EEEES16_NSI_IJLi1ELi1ELi4ELi1EEEES16_NSI_IJLi1ELi1ELi4ELi2EEEES14_S15_S16_S16_S17_S16_S18_NSI_IJLi0ELi1ELi2ELi3ELi4ELi5EEEELi5ELi4EEEDF16_DF16_NS3_INS4_IJSA_SE_SG_SG_NSB_INS4_IJiNS7_IiLi128EEEEEELb0EEENSF_ISC_EEEEENS4_IJSJ_SK_SL_SZ_SP_S10_EEENS4_IJSN_SO_SP_NSI_IJLi6EEEENSI_IJLi7ELi8EEEENSI_IJLi9EEEEEEENSI_IJLi6ELi7ELi8ELi9EEEElEENS3_INS4_IJSU_SE_SG_SG_S1D_S1E_EEENS4_IJSJ_SL_SK_SZ_SP_S10_EEES1K_S1L_lEENS3_INS4_IJSU_SG_SG_NSB_INS4_IJiSC_NS7_IiLi64EEEEEELb0EEES1S_EEENS4_IJSJ_SL_SK_SZ_S10_EEENS4_IJSN_SZ_S10_NSI_IJLi5ELi6ELi7EEEENSI_IJLi8ELi9ELi10EEEEEEENSI_IJLi5ELi6ELi7ELi8ELi9ELi10EEEElEENS_31BlockToCTileMap_M00_N00_M01_N01ILi128ELi128ES12_Lb0EEELb0ELb1EEEvPKT0_S24_PT1_T2_T3_T4_T5_.num_named_barrier, 0
	.set _ZN2ck19kernel_gemm_dl_v1r3INS_28GridwiseGemmDl_km_kn_mn_v1r3ILi256EDF16_fDF16_LNS_25InMemoryDataOperationEnumE0ENS_16TensorDescriptorINS_5TupleIJNS_5EmbedINS4_IJiiEEENS4_IJNS_17integral_constantIiLi1EEEiEEELb0EEENS_7UnMergeINS4_IJiNS7_IiLi2EEEEEELb0EEENS_11PassThroughIiEEEEENS4_IJNS_8SequenceIJLi0EEEENSI_IJLi2EEEENSI_IJLi1EEEEEEENS4_IJNSI_IJLi1ELi2EEEENSI_IJLi3ELi4EEEENSI_IJLi5EEEEEEENSI_IJLi3ELi5ELi4EEEElEENS3_INS4_IJNS5_IS6_NS4_IJiS8_EEELb0EEESE_SG_EEENS4_IJSJ_SL_SK_EEESQ_SR_lEENS3_INS4_IJSU_SG_SG_EEESW_NS4_IJSN_NSI_IJLi3EEEENSI_IJLi4EEEEEEESO_lEELi128ELi128ELi16ELi2ELi4ELi4ELi1ENSI_IJLi8ELi2EEEES13_NSI_IJLi2ELi1ELi4ELi2EEEENSI_IJLi8ELi1ELi32ELi1EEEENSI_IJLi0ELi3ELi1ELi2EEEES16_NSI_IJLi1ELi1ELi4ELi1EEEES16_NSI_IJLi1ELi1ELi4ELi2EEEES14_S15_S16_S16_S17_S16_S18_NSI_IJLi0ELi1ELi2ELi3ELi4ELi5EEEELi5ELi4EEEDF16_DF16_NS3_INS4_IJSA_SE_SG_SG_NSB_INS4_IJiNS7_IiLi128EEEEEELb0EEENSF_ISC_EEEEENS4_IJSJ_SK_SL_SZ_SP_S10_EEENS4_IJSN_SO_SP_NSI_IJLi6EEEENSI_IJLi7ELi8EEEENSI_IJLi9EEEEEEENSI_IJLi6ELi7ELi8ELi9EEEElEENS3_INS4_IJSU_SE_SG_SG_S1D_S1E_EEENS4_IJSJ_SL_SK_SZ_SP_S10_EEES1K_S1L_lEENS3_INS4_IJSU_SG_SG_NSB_INS4_IJiSC_NS7_IiLi64EEEEEELb0EEES1S_EEENS4_IJSJ_SL_SK_SZ_S10_EEENS4_IJSN_SZ_S10_NSI_IJLi5ELi6ELi7EEEENSI_IJLi8ELi9ELi10EEEEEEENSI_IJLi5ELi6ELi7ELi8ELi9ELi10EEEElEENS_31BlockToCTileMap_M00_N00_M01_N01ILi128ELi128ES12_Lb0EEELb0ELb1EEEvPKT0_S24_PT1_T2_T3_T4_T5_.private_seg_size, 0
	.set _ZN2ck19kernel_gemm_dl_v1r3INS_28GridwiseGemmDl_km_kn_mn_v1r3ILi256EDF16_fDF16_LNS_25InMemoryDataOperationEnumE0ENS_16TensorDescriptorINS_5TupleIJNS_5EmbedINS4_IJiiEEENS4_IJNS_17integral_constantIiLi1EEEiEEELb0EEENS_7UnMergeINS4_IJiNS7_IiLi2EEEEEELb0EEENS_11PassThroughIiEEEEENS4_IJNS_8SequenceIJLi0EEEENSI_IJLi2EEEENSI_IJLi1EEEEEEENS4_IJNSI_IJLi1ELi2EEEENSI_IJLi3ELi4EEEENSI_IJLi5EEEEEEENSI_IJLi3ELi5ELi4EEEElEENS3_INS4_IJNS5_IS6_NS4_IJiS8_EEELb0EEESE_SG_EEENS4_IJSJ_SL_SK_EEESQ_SR_lEENS3_INS4_IJSU_SG_SG_EEESW_NS4_IJSN_NSI_IJLi3EEEENSI_IJLi4EEEEEEESO_lEELi128ELi128ELi16ELi2ELi4ELi4ELi1ENSI_IJLi8ELi2EEEES13_NSI_IJLi2ELi1ELi4ELi2EEEENSI_IJLi8ELi1ELi32ELi1EEEENSI_IJLi0ELi3ELi1ELi2EEEES16_NSI_IJLi1ELi1ELi4ELi1EEEES16_NSI_IJLi1ELi1ELi4ELi2EEEES14_S15_S16_S16_S17_S16_S18_NSI_IJLi0ELi1ELi2ELi3ELi4ELi5EEEELi5ELi4EEEDF16_DF16_NS3_INS4_IJSA_SE_SG_SG_NSB_INS4_IJiNS7_IiLi128EEEEEELb0EEENSF_ISC_EEEEENS4_IJSJ_SK_SL_SZ_SP_S10_EEENS4_IJSN_SO_SP_NSI_IJLi6EEEENSI_IJLi7ELi8EEEENSI_IJLi9EEEEEEENSI_IJLi6ELi7ELi8ELi9EEEElEENS3_INS4_IJSU_SE_SG_SG_S1D_S1E_EEENS4_IJSJ_SL_SK_SZ_SP_S10_EEES1K_S1L_lEENS3_INS4_IJSU_SG_SG_NSB_INS4_IJiSC_NS7_IiLi64EEEEEELb0EEES1S_EEENS4_IJSJ_SL_SK_SZ_S10_EEENS4_IJSN_SZ_S10_NSI_IJLi5ELi6ELi7EEEENSI_IJLi8ELi9ELi10EEEEEEENSI_IJLi5ELi6ELi7ELi8ELi9ELi10EEEElEENS_31BlockToCTileMap_M00_N00_M01_N01ILi128ELi128ES12_Lb0EEELb0ELb1EEEvPKT0_S24_PT1_T2_T3_T4_T5_.uses_vcc, 0
	.set _ZN2ck19kernel_gemm_dl_v1r3INS_28GridwiseGemmDl_km_kn_mn_v1r3ILi256EDF16_fDF16_LNS_25InMemoryDataOperationEnumE0ENS_16TensorDescriptorINS_5TupleIJNS_5EmbedINS4_IJiiEEENS4_IJNS_17integral_constantIiLi1EEEiEEELb0EEENS_7UnMergeINS4_IJiNS7_IiLi2EEEEEELb0EEENS_11PassThroughIiEEEEENS4_IJNS_8SequenceIJLi0EEEENSI_IJLi2EEEENSI_IJLi1EEEEEEENS4_IJNSI_IJLi1ELi2EEEENSI_IJLi3ELi4EEEENSI_IJLi5EEEEEEENSI_IJLi3ELi5ELi4EEEElEENS3_INS4_IJNS5_IS6_NS4_IJiS8_EEELb0EEESE_SG_EEENS4_IJSJ_SL_SK_EEESQ_SR_lEENS3_INS4_IJSU_SG_SG_EEESW_NS4_IJSN_NSI_IJLi3EEEENSI_IJLi4EEEEEEESO_lEELi128ELi128ELi16ELi2ELi4ELi4ELi1ENSI_IJLi8ELi2EEEES13_NSI_IJLi2ELi1ELi4ELi2EEEENSI_IJLi8ELi1ELi32ELi1EEEENSI_IJLi0ELi3ELi1ELi2EEEES16_NSI_IJLi1ELi1ELi4ELi1EEEES16_NSI_IJLi1ELi1ELi4ELi2EEEES14_S15_S16_S16_S17_S16_S18_NSI_IJLi0ELi1ELi2ELi3ELi4ELi5EEEELi5ELi4EEEDF16_DF16_NS3_INS4_IJSA_SE_SG_SG_NSB_INS4_IJiNS7_IiLi128EEEEEELb0EEENSF_ISC_EEEEENS4_IJSJ_SK_SL_SZ_SP_S10_EEENS4_IJSN_SO_SP_NSI_IJLi6EEEENSI_IJLi7ELi8EEEENSI_IJLi9EEEEEEENSI_IJLi6ELi7ELi8ELi9EEEElEENS3_INS4_IJSU_SE_SG_SG_S1D_S1E_EEENS4_IJSJ_SL_SK_SZ_SP_S10_EEES1K_S1L_lEENS3_INS4_IJSU_SG_SG_NSB_INS4_IJiSC_NS7_IiLi64EEEEEELb0EEES1S_EEENS4_IJSJ_SL_SK_SZ_S10_EEENS4_IJSN_SZ_S10_NSI_IJLi5ELi6ELi7EEEENSI_IJLi8ELi9ELi10EEEEEEENSI_IJLi5ELi6ELi7ELi8ELi9ELi10EEEElEENS_31BlockToCTileMap_M00_N00_M01_N01ILi128ELi128ES12_Lb0EEELb0ELb1EEEvPKT0_S24_PT1_T2_T3_T4_T5_.uses_flat_scratch, 0
	.set _ZN2ck19kernel_gemm_dl_v1r3INS_28GridwiseGemmDl_km_kn_mn_v1r3ILi256EDF16_fDF16_LNS_25InMemoryDataOperationEnumE0ENS_16TensorDescriptorINS_5TupleIJNS_5EmbedINS4_IJiiEEENS4_IJNS_17integral_constantIiLi1EEEiEEELb0EEENS_7UnMergeINS4_IJiNS7_IiLi2EEEEEELb0EEENS_11PassThroughIiEEEEENS4_IJNS_8SequenceIJLi0EEEENSI_IJLi2EEEENSI_IJLi1EEEEEEENS4_IJNSI_IJLi1ELi2EEEENSI_IJLi3ELi4EEEENSI_IJLi5EEEEEEENSI_IJLi3ELi5ELi4EEEElEENS3_INS4_IJNS5_IS6_NS4_IJiS8_EEELb0EEESE_SG_EEENS4_IJSJ_SL_SK_EEESQ_SR_lEENS3_INS4_IJSU_SG_SG_EEESW_NS4_IJSN_NSI_IJLi3EEEENSI_IJLi4EEEEEEESO_lEELi128ELi128ELi16ELi2ELi4ELi4ELi1ENSI_IJLi8ELi2EEEES13_NSI_IJLi2ELi1ELi4ELi2EEEENSI_IJLi8ELi1ELi32ELi1EEEENSI_IJLi0ELi3ELi1ELi2EEEES16_NSI_IJLi1ELi1ELi4ELi1EEEES16_NSI_IJLi1ELi1ELi4ELi2EEEES14_S15_S16_S16_S17_S16_S18_NSI_IJLi0ELi1ELi2ELi3ELi4ELi5EEEELi5ELi4EEEDF16_DF16_NS3_INS4_IJSA_SE_SG_SG_NSB_INS4_IJiNS7_IiLi128EEEEEELb0EEENSF_ISC_EEEEENS4_IJSJ_SK_SL_SZ_SP_S10_EEENS4_IJSN_SO_SP_NSI_IJLi6EEEENSI_IJLi7ELi8EEEENSI_IJLi9EEEEEEENSI_IJLi6ELi7ELi8ELi9EEEElEENS3_INS4_IJSU_SE_SG_SG_S1D_S1E_EEENS4_IJSJ_SL_SK_SZ_SP_S10_EEES1K_S1L_lEENS3_INS4_IJSU_SG_SG_NSB_INS4_IJiSC_NS7_IiLi64EEEEEELb0EEES1S_EEENS4_IJSJ_SL_SK_SZ_S10_EEENS4_IJSN_SZ_S10_NSI_IJLi5ELi6ELi7EEEENSI_IJLi8ELi9ELi10EEEEEEENSI_IJLi5ELi6ELi7ELi8ELi9ELi10EEEElEENS_31BlockToCTileMap_M00_N00_M01_N01ILi128ELi128ES12_Lb0EEELb0ELb1EEEvPKT0_S24_PT1_T2_T3_T4_T5_.has_dyn_sized_stack, 0
	.set _ZN2ck19kernel_gemm_dl_v1r3INS_28GridwiseGemmDl_km_kn_mn_v1r3ILi256EDF16_fDF16_LNS_25InMemoryDataOperationEnumE0ENS_16TensorDescriptorINS_5TupleIJNS_5EmbedINS4_IJiiEEENS4_IJNS_17integral_constantIiLi1EEEiEEELb0EEENS_7UnMergeINS4_IJiNS7_IiLi2EEEEEELb0EEENS_11PassThroughIiEEEEENS4_IJNS_8SequenceIJLi0EEEENSI_IJLi2EEEENSI_IJLi1EEEEEEENS4_IJNSI_IJLi1ELi2EEEENSI_IJLi3ELi4EEEENSI_IJLi5EEEEEEENSI_IJLi3ELi5ELi4EEEElEENS3_INS4_IJNS5_IS6_NS4_IJiS8_EEELb0EEESE_SG_EEENS4_IJSJ_SL_SK_EEESQ_SR_lEENS3_INS4_IJSU_SG_SG_EEESW_NS4_IJSN_NSI_IJLi3EEEENSI_IJLi4EEEEEEESO_lEELi128ELi128ELi16ELi2ELi4ELi4ELi1ENSI_IJLi8ELi2EEEES13_NSI_IJLi2ELi1ELi4ELi2EEEENSI_IJLi8ELi1ELi32ELi1EEEENSI_IJLi0ELi3ELi1ELi2EEEES16_NSI_IJLi1ELi1ELi4ELi1EEEES16_NSI_IJLi1ELi1ELi4ELi2EEEES14_S15_S16_S16_S17_S16_S18_NSI_IJLi0ELi1ELi2ELi3ELi4ELi5EEEELi5ELi4EEEDF16_DF16_NS3_INS4_IJSA_SE_SG_SG_NSB_INS4_IJiNS7_IiLi128EEEEEELb0EEENSF_ISC_EEEEENS4_IJSJ_SK_SL_SZ_SP_S10_EEENS4_IJSN_SO_SP_NSI_IJLi6EEEENSI_IJLi7ELi8EEEENSI_IJLi9EEEEEEENSI_IJLi6ELi7ELi8ELi9EEEElEENS3_INS4_IJSU_SE_SG_SG_S1D_S1E_EEENS4_IJSJ_SL_SK_SZ_SP_S10_EEES1K_S1L_lEENS3_INS4_IJSU_SG_SG_NSB_INS4_IJiSC_NS7_IiLi64EEEEEELb0EEES1S_EEENS4_IJSJ_SL_SK_SZ_S10_EEENS4_IJSN_SZ_S10_NSI_IJLi5ELi6ELi7EEEENSI_IJLi8ELi9ELi10EEEEEEENSI_IJLi5ELi6ELi7ELi8ELi9ELi10EEEElEENS_31BlockToCTileMap_M00_N00_M01_N01ILi128ELi128ES12_Lb0EEELb0ELb1EEEvPKT0_S24_PT1_T2_T3_T4_T5_.has_recursion, 0
	.set _ZN2ck19kernel_gemm_dl_v1r3INS_28GridwiseGemmDl_km_kn_mn_v1r3ILi256EDF16_fDF16_LNS_25InMemoryDataOperationEnumE0ENS_16TensorDescriptorINS_5TupleIJNS_5EmbedINS4_IJiiEEENS4_IJNS_17integral_constantIiLi1EEEiEEELb0EEENS_7UnMergeINS4_IJiNS7_IiLi2EEEEEELb0EEENS_11PassThroughIiEEEEENS4_IJNS_8SequenceIJLi0EEEENSI_IJLi2EEEENSI_IJLi1EEEEEEENS4_IJNSI_IJLi1ELi2EEEENSI_IJLi3ELi4EEEENSI_IJLi5EEEEEEENSI_IJLi3ELi5ELi4EEEElEENS3_INS4_IJNS5_IS6_NS4_IJiS8_EEELb0EEESE_SG_EEENS4_IJSJ_SL_SK_EEESQ_SR_lEENS3_INS4_IJSU_SG_SG_EEESW_NS4_IJSN_NSI_IJLi3EEEENSI_IJLi4EEEEEEESO_lEELi128ELi128ELi16ELi2ELi4ELi4ELi1ENSI_IJLi8ELi2EEEES13_NSI_IJLi2ELi1ELi4ELi2EEEENSI_IJLi8ELi1ELi32ELi1EEEENSI_IJLi0ELi3ELi1ELi2EEEES16_NSI_IJLi1ELi1ELi4ELi1EEEES16_NSI_IJLi1ELi1ELi4ELi2EEEES14_S15_S16_S16_S17_S16_S18_NSI_IJLi0ELi1ELi2ELi3ELi4ELi5EEEELi5ELi4EEEDF16_DF16_NS3_INS4_IJSA_SE_SG_SG_NSB_INS4_IJiNS7_IiLi128EEEEEELb0EEENSF_ISC_EEEEENS4_IJSJ_SK_SL_SZ_SP_S10_EEENS4_IJSN_SO_SP_NSI_IJLi6EEEENSI_IJLi7ELi8EEEENSI_IJLi9EEEEEEENSI_IJLi6ELi7ELi8ELi9EEEElEENS3_INS4_IJSU_SE_SG_SG_S1D_S1E_EEENS4_IJSJ_SL_SK_SZ_SP_S10_EEES1K_S1L_lEENS3_INS4_IJSU_SG_SG_NSB_INS4_IJiSC_NS7_IiLi64EEEEEELb0EEES1S_EEENS4_IJSJ_SL_SK_SZ_S10_EEENS4_IJSN_SZ_S10_NSI_IJLi5ELi6ELi7EEEENSI_IJLi8ELi9ELi10EEEEEEENSI_IJLi5ELi6ELi7ELi8ELi9ELi10EEEElEENS_31BlockToCTileMap_M00_N00_M01_N01ILi128ELi128ES12_Lb0EEELb0ELb1EEEvPKT0_S24_PT1_T2_T3_T4_T5_.has_indirect_call, 0
	.section	.AMDGPU.csdata,"",@progbits
; Kernel info:
; codeLenInByte = 19616
; TotalNumSgprs: 33
; NumVgprs: 101
; ScratchSize: 0
; MemoryBound: 0
; FloatMode: 240
; IeeeMode: 1
; LDSByteSize: 32768 bytes/workgroup (compile time only)
; SGPRBlocks: 12
; VGPRBlocks: 25
; NumSGPRsForWavesPerEU: 102
; NumVGPRsForWavesPerEU: 101
; Occupancy: 2
; WaveLimiterHint : 0
; COMPUTE_PGM_RSRC2:SCRATCH_EN: 0
; COMPUTE_PGM_RSRC2:USER_SGPR: 6
; COMPUTE_PGM_RSRC2:TRAP_HANDLER: 0
; COMPUTE_PGM_RSRC2:TGID_X_EN: 1
; COMPUTE_PGM_RSRC2:TGID_Y_EN: 0
; COMPUTE_PGM_RSRC2:TGID_Z_EN: 0
; COMPUTE_PGM_RSRC2:TIDIG_COMP_CNT: 0
	.section	.text._ZN2ck19kernel_gemm_dl_v1r3INS_28GridwiseGemmDl_km_kn_mn_v1r3ILi256EDF16_fDF16_LNS_25InMemoryDataOperationEnumE0ENS_16TensorDescriptorINS_5TupleIJNS_5EmbedINS4_IJiiEEENS4_IJNS_17integral_constantIiLi1EEEiEEELb0EEENS_7UnMergeINS4_IJiNS7_IiLi2EEEEEELb0EEENS_11PassThroughIiEEEEENS4_IJNS_8SequenceIJLi0EEEENSI_IJLi2EEEENSI_IJLi1EEEEEEENS4_IJNSI_IJLi1ELi2EEEENSI_IJLi3ELi4EEEENSI_IJLi5EEEEEEENSI_IJLi3ELi5ELi4EEEElEENS3_INS4_IJNS5_IS6_NS4_IJiS8_EEELb0EEESE_SG_EEENS4_IJSJ_SL_SK_EEESQ_SR_lEENS3_INS4_IJSU_SG_SG_EEESW_NS4_IJSN_NSI_IJLi3EEEENSI_IJLi4EEEEEEESO_lEELi128ELi128ELi16ELi2ELi4ELi4ELi1ENSI_IJLi8ELi2EEEES13_NSI_IJLi2ELi1ELi4ELi2EEEENSI_IJLi8ELi1ELi32ELi1EEEENSI_IJLi0ELi3ELi1ELi2EEEES16_NSI_IJLi1ELi1ELi4ELi1EEEES16_NSI_IJLi1ELi1ELi4ELi2EEEES14_S15_S16_S16_S17_S16_S18_NSI_IJLi0ELi1ELi2ELi3ELi4ELi5EEEELi5ELi4EEEDF16_DF16_NS3_INS4_IJSA_SE_SG_SG_NSB_INS4_IJiNS7_IiLi128EEEEEELb0EEENSF_ISC_EEEEENS4_IJSJ_SK_SL_SZ_SP_S10_EEENS4_IJSN_SO_SP_NSI_IJLi6EEEENSI_IJLi7ELi8EEEENSI_IJLi9EEEEEEENSI_IJLi6ELi7ELi8ELi9EEEElEENS3_INS4_IJSU_SE_SG_SG_S1D_S1E_EEENS4_IJSJ_SL_SK_SZ_SP_S10_EEES1K_S1L_lEENS3_INS4_IJSU_SG_SG_NSB_INS4_IJiSC_NS7_IiLi64EEEEEELb0EEES1S_EEENS4_IJSJ_SL_SK_SZ_S10_EEENS4_IJSN_SZ_S10_NSI_IJLi5ELi6ELi7EEEENSI_IJLi8ELi9ELi10EEEEEEENSI_IJLi5ELi6ELi7ELi8ELi9ELi10EEEElEENS_31BlockToCTileMap_M00_N00_M01_N01ILi128ELi128ES12_Lb0EEELb0ELb0EEEvPKT0_S24_PT1_T2_T3_T4_T5_,"axG",@progbits,_ZN2ck19kernel_gemm_dl_v1r3INS_28GridwiseGemmDl_km_kn_mn_v1r3ILi256EDF16_fDF16_LNS_25InMemoryDataOperationEnumE0ENS_16TensorDescriptorINS_5TupleIJNS_5EmbedINS4_IJiiEEENS4_IJNS_17integral_constantIiLi1EEEiEEELb0EEENS_7UnMergeINS4_IJiNS7_IiLi2EEEEEELb0EEENS_11PassThroughIiEEEEENS4_IJNS_8SequenceIJLi0EEEENSI_IJLi2EEEENSI_IJLi1EEEEEEENS4_IJNSI_IJLi1ELi2EEEENSI_IJLi3ELi4EEEENSI_IJLi5EEEEEEENSI_IJLi3ELi5ELi4EEEElEENS3_INS4_IJNS5_IS6_NS4_IJiS8_EEELb0EEESE_SG_EEENS4_IJSJ_SL_SK_EEESQ_SR_lEENS3_INS4_IJSU_SG_SG_EEESW_NS4_IJSN_NSI_IJLi3EEEENSI_IJLi4EEEEEEESO_lEELi128ELi128ELi16ELi2ELi4ELi4ELi1ENSI_IJLi8ELi2EEEES13_NSI_IJLi2ELi1ELi4ELi2EEEENSI_IJLi8ELi1ELi32ELi1EEEENSI_IJLi0ELi3ELi1ELi2EEEES16_NSI_IJLi1ELi1ELi4ELi1EEEES16_NSI_IJLi1ELi1ELi4ELi2EEEES14_S15_S16_S16_S17_S16_S18_NSI_IJLi0ELi1ELi2ELi3ELi4ELi5EEEELi5ELi4EEEDF16_DF16_NS3_INS4_IJSA_SE_SG_SG_NSB_INS4_IJiNS7_IiLi128EEEEEELb0EEENSF_ISC_EEEEENS4_IJSJ_SK_SL_SZ_SP_S10_EEENS4_IJSN_SO_SP_NSI_IJLi6EEEENSI_IJLi7ELi8EEEENSI_IJLi9EEEEEEENSI_IJLi6ELi7ELi8ELi9EEEElEENS3_INS4_IJSU_SE_SG_SG_S1D_S1E_EEENS4_IJSJ_SL_SK_SZ_SP_S10_EEES1K_S1L_lEENS3_INS4_IJSU_SG_SG_NSB_INS4_IJiSC_NS7_IiLi64EEEEEELb0EEES1S_EEENS4_IJSJ_SL_SK_SZ_S10_EEENS4_IJSN_SZ_S10_NSI_IJLi5ELi6ELi7EEEENSI_IJLi8ELi9ELi10EEEEEEENSI_IJLi5ELi6ELi7ELi8ELi9ELi10EEEElEENS_31BlockToCTileMap_M00_N00_M01_N01ILi128ELi128ES12_Lb0EEELb0ELb0EEEvPKT0_S24_PT1_T2_T3_T4_T5_,comdat
	.protected	_ZN2ck19kernel_gemm_dl_v1r3INS_28GridwiseGemmDl_km_kn_mn_v1r3ILi256EDF16_fDF16_LNS_25InMemoryDataOperationEnumE0ENS_16TensorDescriptorINS_5TupleIJNS_5EmbedINS4_IJiiEEENS4_IJNS_17integral_constantIiLi1EEEiEEELb0EEENS_7UnMergeINS4_IJiNS7_IiLi2EEEEEELb0EEENS_11PassThroughIiEEEEENS4_IJNS_8SequenceIJLi0EEEENSI_IJLi2EEEENSI_IJLi1EEEEEEENS4_IJNSI_IJLi1ELi2EEEENSI_IJLi3ELi4EEEENSI_IJLi5EEEEEEENSI_IJLi3ELi5ELi4EEEElEENS3_INS4_IJNS5_IS6_NS4_IJiS8_EEELb0EEESE_SG_EEENS4_IJSJ_SL_SK_EEESQ_SR_lEENS3_INS4_IJSU_SG_SG_EEESW_NS4_IJSN_NSI_IJLi3EEEENSI_IJLi4EEEEEEESO_lEELi128ELi128ELi16ELi2ELi4ELi4ELi1ENSI_IJLi8ELi2EEEES13_NSI_IJLi2ELi1ELi4ELi2EEEENSI_IJLi8ELi1ELi32ELi1EEEENSI_IJLi0ELi3ELi1ELi2EEEES16_NSI_IJLi1ELi1ELi4ELi1EEEES16_NSI_IJLi1ELi1ELi4ELi2EEEES14_S15_S16_S16_S17_S16_S18_NSI_IJLi0ELi1ELi2ELi3ELi4ELi5EEEELi5ELi4EEEDF16_DF16_NS3_INS4_IJSA_SE_SG_SG_NSB_INS4_IJiNS7_IiLi128EEEEEELb0EEENSF_ISC_EEEEENS4_IJSJ_SK_SL_SZ_SP_S10_EEENS4_IJSN_SO_SP_NSI_IJLi6EEEENSI_IJLi7ELi8EEEENSI_IJLi9EEEEEEENSI_IJLi6ELi7ELi8ELi9EEEElEENS3_INS4_IJSU_SE_SG_SG_S1D_S1E_EEENS4_IJSJ_SL_SK_SZ_SP_S10_EEES1K_S1L_lEENS3_INS4_IJSU_SG_SG_NSB_INS4_IJiSC_NS7_IiLi64EEEEEELb0EEES1S_EEENS4_IJSJ_SL_SK_SZ_S10_EEENS4_IJSN_SZ_S10_NSI_IJLi5ELi6ELi7EEEENSI_IJLi8ELi9ELi10EEEEEEENSI_IJLi5ELi6ELi7ELi8ELi9ELi10EEEElEENS_31BlockToCTileMap_M00_N00_M01_N01ILi128ELi128ES12_Lb0EEELb0ELb0EEEvPKT0_S24_PT1_T2_T3_T4_T5_ ; -- Begin function _ZN2ck19kernel_gemm_dl_v1r3INS_28GridwiseGemmDl_km_kn_mn_v1r3ILi256EDF16_fDF16_LNS_25InMemoryDataOperationEnumE0ENS_16TensorDescriptorINS_5TupleIJNS_5EmbedINS4_IJiiEEENS4_IJNS_17integral_constantIiLi1EEEiEEELb0EEENS_7UnMergeINS4_IJiNS7_IiLi2EEEEEELb0EEENS_11PassThroughIiEEEEENS4_IJNS_8SequenceIJLi0EEEENSI_IJLi2EEEENSI_IJLi1EEEEEEENS4_IJNSI_IJLi1ELi2EEEENSI_IJLi3ELi4EEEENSI_IJLi5EEEEEEENSI_IJLi3ELi5ELi4EEEElEENS3_INS4_IJNS5_IS6_NS4_IJiS8_EEELb0EEESE_SG_EEENS4_IJSJ_SL_SK_EEESQ_SR_lEENS3_INS4_IJSU_SG_SG_EEESW_NS4_IJSN_NSI_IJLi3EEEENSI_IJLi4EEEEEEESO_lEELi128ELi128ELi16ELi2ELi4ELi4ELi1ENSI_IJLi8ELi2EEEES13_NSI_IJLi2ELi1ELi4ELi2EEEENSI_IJLi8ELi1ELi32ELi1EEEENSI_IJLi0ELi3ELi1ELi2EEEES16_NSI_IJLi1ELi1ELi4ELi1EEEES16_NSI_IJLi1ELi1ELi4ELi2EEEES14_S15_S16_S16_S17_S16_S18_NSI_IJLi0ELi1ELi2ELi3ELi4ELi5EEEELi5ELi4EEEDF16_DF16_NS3_INS4_IJSA_SE_SG_SG_NSB_INS4_IJiNS7_IiLi128EEEEEELb0EEENSF_ISC_EEEEENS4_IJSJ_SK_SL_SZ_SP_S10_EEENS4_IJSN_SO_SP_NSI_IJLi6EEEENSI_IJLi7ELi8EEEENSI_IJLi9EEEEEEENSI_IJLi6ELi7ELi8ELi9EEEElEENS3_INS4_IJSU_SE_SG_SG_S1D_S1E_EEENS4_IJSJ_SL_SK_SZ_SP_S10_EEES1K_S1L_lEENS3_INS4_IJSU_SG_SG_NSB_INS4_IJiSC_NS7_IiLi64EEEEEELb0EEES1S_EEENS4_IJSJ_SL_SK_SZ_S10_EEENS4_IJSN_SZ_S10_NSI_IJLi5ELi6ELi7EEEENSI_IJLi8ELi9ELi10EEEEEEENSI_IJLi5ELi6ELi7ELi8ELi9ELi10EEEElEENS_31BlockToCTileMap_M00_N00_M01_N01ILi128ELi128ES12_Lb0EEELb0ELb0EEEvPKT0_S24_PT1_T2_T3_T4_T5_
	.globl	_ZN2ck19kernel_gemm_dl_v1r3INS_28GridwiseGemmDl_km_kn_mn_v1r3ILi256EDF16_fDF16_LNS_25InMemoryDataOperationEnumE0ENS_16TensorDescriptorINS_5TupleIJNS_5EmbedINS4_IJiiEEENS4_IJNS_17integral_constantIiLi1EEEiEEELb0EEENS_7UnMergeINS4_IJiNS7_IiLi2EEEEEELb0EEENS_11PassThroughIiEEEEENS4_IJNS_8SequenceIJLi0EEEENSI_IJLi2EEEENSI_IJLi1EEEEEEENS4_IJNSI_IJLi1ELi2EEEENSI_IJLi3ELi4EEEENSI_IJLi5EEEEEEENSI_IJLi3ELi5ELi4EEEElEENS3_INS4_IJNS5_IS6_NS4_IJiS8_EEELb0EEESE_SG_EEENS4_IJSJ_SL_SK_EEESQ_SR_lEENS3_INS4_IJSU_SG_SG_EEESW_NS4_IJSN_NSI_IJLi3EEEENSI_IJLi4EEEEEEESO_lEELi128ELi128ELi16ELi2ELi4ELi4ELi1ENSI_IJLi8ELi2EEEES13_NSI_IJLi2ELi1ELi4ELi2EEEENSI_IJLi8ELi1ELi32ELi1EEEENSI_IJLi0ELi3ELi1ELi2EEEES16_NSI_IJLi1ELi1ELi4ELi1EEEES16_NSI_IJLi1ELi1ELi4ELi2EEEES14_S15_S16_S16_S17_S16_S18_NSI_IJLi0ELi1ELi2ELi3ELi4ELi5EEEELi5ELi4EEEDF16_DF16_NS3_INS4_IJSA_SE_SG_SG_NSB_INS4_IJiNS7_IiLi128EEEEEELb0EEENSF_ISC_EEEEENS4_IJSJ_SK_SL_SZ_SP_S10_EEENS4_IJSN_SO_SP_NSI_IJLi6EEEENSI_IJLi7ELi8EEEENSI_IJLi9EEEEEEENSI_IJLi6ELi7ELi8ELi9EEEElEENS3_INS4_IJSU_SE_SG_SG_S1D_S1E_EEENS4_IJSJ_SL_SK_SZ_SP_S10_EEES1K_S1L_lEENS3_INS4_IJSU_SG_SG_NSB_INS4_IJiSC_NS7_IiLi64EEEEEELb0EEES1S_EEENS4_IJSJ_SL_SK_SZ_S10_EEENS4_IJSN_SZ_S10_NSI_IJLi5ELi6ELi7EEEENSI_IJLi8ELi9ELi10EEEEEEENSI_IJLi5ELi6ELi7ELi8ELi9ELi10EEEElEENS_31BlockToCTileMap_M00_N00_M01_N01ILi128ELi128ES12_Lb0EEELb0ELb0EEEvPKT0_S24_PT1_T2_T3_T4_T5_
	.p2align	8
	.type	_ZN2ck19kernel_gemm_dl_v1r3INS_28GridwiseGemmDl_km_kn_mn_v1r3ILi256EDF16_fDF16_LNS_25InMemoryDataOperationEnumE0ENS_16TensorDescriptorINS_5TupleIJNS_5EmbedINS4_IJiiEEENS4_IJNS_17integral_constantIiLi1EEEiEEELb0EEENS_7UnMergeINS4_IJiNS7_IiLi2EEEEEELb0EEENS_11PassThroughIiEEEEENS4_IJNS_8SequenceIJLi0EEEENSI_IJLi2EEEENSI_IJLi1EEEEEEENS4_IJNSI_IJLi1ELi2EEEENSI_IJLi3ELi4EEEENSI_IJLi5EEEEEEENSI_IJLi3ELi5ELi4EEEElEENS3_INS4_IJNS5_IS6_NS4_IJiS8_EEELb0EEESE_SG_EEENS4_IJSJ_SL_SK_EEESQ_SR_lEENS3_INS4_IJSU_SG_SG_EEESW_NS4_IJSN_NSI_IJLi3EEEENSI_IJLi4EEEEEEESO_lEELi128ELi128ELi16ELi2ELi4ELi4ELi1ENSI_IJLi8ELi2EEEES13_NSI_IJLi2ELi1ELi4ELi2EEEENSI_IJLi8ELi1ELi32ELi1EEEENSI_IJLi0ELi3ELi1ELi2EEEES16_NSI_IJLi1ELi1ELi4ELi1EEEES16_NSI_IJLi1ELi1ELi4ELi2EEEES14_S15_S16_S16_S17_S16_S18_NSI_IJLi0ELi1ELi2ELi3ELi4ELi5EEEELi5ELi4EEEDF16_DF16_NS3_INS4_IJSA_SE_SG_SG_NSB_INS4_IJiNS7_IiLi128EEEEEELb0EEENSF_ISC_EEEEENS4_IJSJ_SK_SL_SZ_SP_S10_EEENS4_IJSN_SO_SP_NSI_IJLi6EEEENSI_IJLi7ELi8EEEENSI_IJLi9EEEEEEENSI_IJLi6ELi7ELi8ELi9EEEElEENS3_INS4_IJSU_SE_SG_SG_S1D_S1E_EEENS4_IJSJ_SL_SK_SZ_SP_S10_EEES1K_S1L_lEENS3_INS4_IJSU_SG_SG_NSB_INS4_IJiSC_NS7_IiLi64EEEEEELb0EEES1S_EEENS4_IJSJ_SL_SK_SZ_S10_EEENS4_IJSN_SZ_S10_NSI_IJLi5ELi6ELi7EEEENSI_IJLi8ELi9ELi10EEEEEEENSI_IJLi5ELi6ELi7ELi8ELi9ELi10EEEElEENS_31BlockToCTileMap_M00_N00_M01_N01ILi128ELi128ES12_Lb0EEELb0ELb0EEEvPKT0_S24_PT1_T2_T3_T4_T5_,@function
_ZN2ck19kernel_gemm_dl_v1r3INS_28GridwiseGemmDl_km_kn_mn_v1r3ILi256EDF16_fDF16_LNS_25InMemoryDataOperationEnumE0ENS_16TensorDescriptorINS_5TupleIJNS_5EmbedINS4_IJiiEEENS4_IJNS_17integral_constantIiLi1EEEiEEELb0EEENS_7UnMergeINS4_IJiNS7_IiLi2EEEEEELb0EEENS_11PassThroughIiEEEEENS4_IJNS_8SequenceIJLi0EEEENSI_IJLi2EEEENSI_IJLi1EEEEEEENS4_IJNSI_IJLi1ELi2EEEENSI_IJLi3ELi4EEEENSI_IJLi5EEEEEEENSI_IJLi3ELi5ELi4EEEElEENS3_INS4_IJNS5_IS6_NS4_IJiS8_EEELb0EEESE_SG_EEENS4_IJSJ_SL_SK_EEESQ_SR_lEENS3_INS4_IJSU_SG_SG_EEESW_NS4_IJSN_NSI_IJLi3EEEENSI_IJLi4EEEEEEESO_lEELi128ELi128ELi16ELi2ELi4ELi4ELi1ENSI_IJLi8ELi2EEEES13_NSI_IJLi2ELi1ELi4ELi2EEEENSI_IJLi8ELi1ELi32ELi1EEEENSI_IJLi0ELi3ELi1ELi2EEEES16_NSI_IJLi1ELi1ELi4ELi1EEEES16_NSI_IJLi1ELi1ELi4ELi2EEEES14_S15_S16_S16_S17_S16_S18_NSI_IJLi0ELi1ELi2ELi3ELi4ELi5EEEELi5ELi4EEEDF16_DF16_NS3_INS4_IJSA_SE_SG_SG_NSB_INS4_IJiNS7_IiLi128EEEEEELb0EEENSF_ISC_EEEEENS4_IJSJ_SK_SL_SZ_SP_S10_EEENS4_IJSN_SO_SP_NSI_IJLi6EEEENSI_IJLi7ELi8EEEENSI_IJLi9EEEEEEENSI_IJLi6ELi7ELi8ELi9EEEElEENS3_INS4_IJSU_SE_SG_SG_S1D_S1E_EEENS4_IJSJ_SL_SK_SZ_SP_S10_EEES1K_S1L_lEENS3_INS4_IJSU_SG_SG_NSB_INS4_IJiSC_NS7_IiLi64EEEEEELb0EEES1S_EEENS4_IJSJ_SL_SK_SZ_S10_EEENS4_IJSN_SZ_S10_NSI_IJLi5ELi6ELi7EEEENSI_IJLi8ELi9ELi10EEEEEEENSI_IJLi5ELi6ELi7ELi8ELi9ELi10EEEElEENS_31BlockToCTileMap_M00_N00_M01_N01ILi128ELi128ES12_Lb0EEELb0ELb0EEEvPKT0_S24_PT1_T2_T3_T4_T5_: ; @_ZN2ck19kernel_gemm_dl_v1r3INS_28GridwiseGemmDl_km_kn_mn_v1r3ILi256EDF16_fDF16_LNS_25InMemoryDataOperationEnumE0ENS_16TensorDescriptorINS_5TupleIJNS_5EmbedINS4_IJiiEEENS4_IJNS_17integral_constantIiLi1EEEiEEELb0EEENS_7UnMergeINS4_IJiNS7_IiLi2EEEEEELb0EEENS_11PassThroughIiEEEEENS4_IJNS_8SequenceIJLi0EEEENSI_IJLi2EEEENSI_IJLi1EEEEEEENS4_IJNSI_IJLi1ELi2EEEENSI_IJLi3ELi4EEEENSI_IJLi5EEEEEEENSI_IJLi3ELi5ELi4EEEElEENS3_INS4_IJNS5_IS6_NS4_IJiS8_EEELb0EEESE_SG_EEENS4_IJSJ_SL_SK_EEESQ_SR_lEENS3_INS4_IJSU_SG_SG_EEESW_NS4_IJSN_NSI_IJLi3EEEENSI_IJLi4EEEEEEESO_lEELi128ELi128ELi16ELi2ELi4ELi4ELi1ENSI_IJLi8ELi2EEEES13_NSI_IJLi2ELi1ELi4ELi2EEEENSI_IJLi8ELi1ELi32ELi1EEEENSI_IJLi0ELi3ELi1ELi2EEEES16_NSI_IJLi1ELi1ELi4ELi1EEEES16_NSI_IJLi1ELi1ELi4ELi2EEEES14_S15_S16_S16_S17_S16_S18_NSI_IJLi0ELi1ELi2ELi3ELi4ELi5EEEELi5ELi4EEEDF16_DF16_NS3_INS4_IJSA_SE_SG_SG_NSB_INS4_IJiNS7_IiLi128EEEEEELb0EEENSF_ISC_EEEEENS4_IJSJ_SK_SL_SZ_SP_S10_EEENS4_IJSN_SO_SP_NSI_IJLi6EEEENSI_IJLi7ELi8EEEENSI_IJLi9EEEEEEENSI_IJLi6ELi7ELi8ELi9EEEElEENS3_INS4_IJSU_SE_SG_SG_S1D_S1E_EEENS4_IJSJ_SL_SK_SZ_SP_S10_EEES1K_S1L_lEENS3_INS4_IJSU_SG_SG_NSB_INS4_IJiSC_NS7_IiLi64EEEEEELb0EEES1S_EEENS4_IJSJ_SL_SK_SZ_S10_EEENS4_IJSN_SZ_S10_NSI_IJLi5ELi6ELi7EEEENSI_IJLi8ELi9ELi10EEEEEEENSI_IJLi5ELi6ELi7ELi8ELi9ELi10EEEElEENS_31BlockToCTileMap_M00_N00_M01_N01ILi128ELi128ES12_Lb0EEELb0ELb0EEEvPKT0_S24_PT1_T2_T3_T4_T5_
; %bb.0:
	s_load_dwordx4 s[8:11], s[4:5], 0x0
	s_load_dwordx2 s[0:1], s[4:5], 0x10
	s_load_dwordx4 s[16:19], s[4:5], 0x108
	s_load_dwordx4 s[20:23], s[4:5], 0x11c
	;; [unrolled: 1-line block ×3, first 2 shown]
	s_load_dword s14, s[4:5], 0x24
	s_load_dword s7, s[4:5], 0x50
	;; [unrolled: 1-line block ×8, first 2 shown]
	s_waitcnt lgkmcnt(0)
	s_mul_hi_u32 s4, s23, s6
	s_add_i32 s4, s6, s4
	s_lshr_b32 s4, s4, s27
	s_mul_i32 s5, s4, s19
	s_sub_i32 s5, s6, s5
	s_mul_hi_u32 s6, s4, s22
	s_add_i32 s6, s4, s6
	s_lshr_b32 s6, s6, s26
	s_mul_i32 s18, s6, s18
	s_sub_i32 s4, s4, s18
	;; [unrolled: 5-line block ×3, first 2 shown]
	s_mul_hi_u32 s17, s18, s20
	s_add_i32 s17, s18, s17
	v_lshrrev_b32_e32 v1, 4, v0
	s_lshr_b32 s17, s17, s24
	v_and_b32_e32 v2, 14, v1
	s_mul_i32 s17, s17, s16
	v_lshlrev_b32_e32 v3, 1, v2
	s_sub_i32 s16, s18, s17
	v_mul_lo_u32 v4, s14, v3
	s_mul_i32 s16, s16, s3
	v_mul_lo_u32 v3, s15, v3
	s_mul_i32 s6, s6, s13
	s_add_i32 s4, s4, s16
	v_lshlrev_b32_e32 v1, 2, v0
	s_add_i32 s5, s5, s6
	v_and_b32_e32 v5, 0x7c, v1
	s_lshl_b32 s13, s4, 7
	v_add3_u32 v4, v4, v5, s13
	s_lshl_b32 s3, s5, 7
	s_mov_b32 s4, s8
	s_lshl_b32 s8, s14, 1
	v_add3_u32 v3, v3, v5, s3
	s_lshl_b32 s6, s7, 1
	s_and_b32 s5, s9, 0xffff
	s_mov_b32 s7, 0x20000
	v_lshlrev_b32_e32 v14, 1, v4
	v_add_u32_e32 v6, s14, v4
	v_add_lshl_u32 v4, s8, v4, 1
	v_lshlrev_b32_e32 v15, 1, v6
	v_add_lshl_u32 v16, v6, s8, 1
	buffer_load_dwordx2 v[6:7], v14, s[4:7], 0 offen
	buffer_load_dwordx2 v[8:9], v15, s[4:7], 0 offen
	;; [unrolled: 1-line block ×4, first 2 shown]
	s_lshl_b32 s6, s28, 1
	s_and_b32 s5, s11, 0xffff
	s_mov_b32 s4, s10
	v_lshlrev_b32_e32 v4, 1, v3
	v_add_u32_e32 v18, s15, v3
	s_lshl_b32 s8, s15, 1
	v_lshlrev_b32_e32 v19, 1, v18
	buffer_load_dwordx2 v[14:15], v4, s[4:7], 0 offen
	buffer_load_dwordx2 v[16:17], v19, s[4:7], 0 offen
	v_add_lshl_u32 v4, v18, s8, 1
	v_add_lshl_u32 v3, s8, v3, 1
	buffer_load_dwordx2 v[18:19], v4, s[4:7], 0 offen
	buffer_load_dwordx2 v[20:21], v3, s[4:7], 0 offen
	v_lshrrev_b32_e32 v3, 5, v0
	v_lshlrev_b32_e32 v0, 1, v0
	v_lshlrev_b32_e32 v4, 6, v3
	v_and_b32_e32 v22, 0x1f8, v0
	v_lshlrev_b32_e32 v3, 3, v3
	s_mov_b32 s4, 0x7060302
	s_mov_b32 s5, 0x5040100
	v_sub_u32_e32 v4, v22, v4
	v_and_or_b32 v0, v0, 4, v3
	v_lshlrev_b32_e32 v3, 2, v5
	v_and_or_b32 v1, v1, 4, v4
	v_lshl_or_b32 v22, v2, 9, v3
	s_lshl_b32 s2, s2, 1
	s_and_b32 s1, s1, 0xffff
	s_waitcnt vmcnt(6)
	v_perm_b32 v5, v9, v7, s4
	v_perm_b32 v3, v8, v6, s4
	v_perm_b32 v2, v8, v6, s5
	v_perm_b32 v4, v9, v7, s5
	s_waitcnt vmcnt(4)
	v_perm_b32 v9, v11, v13, s4
	v_perm_b32 v7, v10, v12, s4
	v_perm_b32 v6, v10, v12, s5
	v_perm_b32 v8, v11, v13, s5
	s_waitcnt vmcnt(2)
	v_perm_b32 v13, v17, v15, s4
	v_perm_b32 v11, v16, v14, s4
	v_perm_b32 v10, v16, v14, s5
	v_perm_b32 v12, v17, v15, s5
	s_waitcnt vmcnt(0)
	v_perm_b32 v17, v19, v21, s4
	v_perm_b32 v15, v18, v20, s4
	v_perm_b32 v14, v18, v20, s5
	v_perm_b32 v16, v19, v21, s5
	ds_write_b128 v22, v[2:5]
	ds_write_b128 v22, v[6:9] offset:512
	ds_write_b128 v22, v[10:13] offset:16384
	;; [unrolled: 1-line block ×3, first 2 shown]
	v_lshlrev_b32_e32 v2, 2, v0
	v_lshlrev_b32_e32 v3, 2, v1
	s_waitcnt lgkmcnt(0)
	s_barrier
	ds_read_b128 v[4:7], v2
	ds_read_b128 v[8:11], v3 offset:16384
	ds_read_b128 v[12:15], v3 offset:16640
	ds_read_b128 v[16:19], v2 offset:256
	v_or_b32_e32 v0, s13, v0
	v_mul_lo_u32 v0, v0, s12
	s_waitcnt lgkmcnt(2)
	v_dot2_f32_f16 v20, v4, v8, 0
	v_dot2_f32_f16 v21, v4, v9, 0
	;; [unrolled: 1-line block ×16, first 2 shown]
	s_waitcnt lgkmcnt(1)
	v_dot2_f32_f16 v36, v4, v12, 0
	v_dot2_f32_f16 v37, v4, v13, 0
	;; [unrolled: 1-line block ×16, first 2 shown]
	ds_read_b128 v[4:7], v2 offset:512
	s_waitcnt lgkmcnt(1)
	v_dot2_f32_f16 v52, v16, v8, 0
	v_dot2_f32_f16 v53, v16, v9, 0
	;; [unrolled: 1-line block ×16, first 2 shown]
	ds_read_b128 v[8:11], v3 offset:16896
	v_dot2_f32_f16 v68, v16, v12, 0
	v_dot2_f32_f16 v69, v16, v13, 0
	;; [unrolled: 1-line block ×16, first 2 shown]
	ds_read_b128 v[12:15], v3 offset:17152
	ds_read_b128 v[16:19], v2 offset:768
	s_waitcnt lgkmcnt(2)
	v_dot2_f32_f16 v20, v4, v8, v20
	v_dot2_f32_f16 v21, v4, v9, v21
	;; [unrolled: 1-line block ×16, first 2 shown]
	s_waitcnt lgkmcnt(1)
	v_dot2_f32_f16 v36, v4, v12, v36
	v_dot2_f32_f16 v37, v4, v13, v37
	;; [unrolled: 1-line block ×16, first 2 shown]
	ds_read_b128 v[4:7], v2 offset:1024
	s_waitcnt lgkmcnt(1)
	v_dot2_f32_f16 v52, v16, v8, v52
	v_dot2_f32_f16 v53, v16, v9, v53
	;; [unrolled: 1-line block ×16, first 2 shown]
	ds_read_b128 v[8:11], v3 offset:17408
	v_dot2_f32_f16 v68, v16, v12, v68
	v_dot2_f32_f16 v69, v16, v13, v69
	;; [unrolled: 1-line block ×16, first 2 shown]
	ds_read_b128 v[12:15], v3 offset:17664
	ds_read_b128 v[16:19], v2 offset:1280
	s_waitcnt lgkmcnt(2)
	v_dot2_f32_f16 v20, v4, v8, v20
	v_dot2_f32_f16 v21, v4, v9, v21
	;; [unrolled: 1-line block ×16, first 2 shown]
	s_waitcnt lgkmcnt(1)
	v_dot2_f32_f16 v36, v4, v12, v36
	v_dot2_f32_f16 v37, v4, v13, v37
	;; [unrolled: 1-line block ×16, first 2 shown]
	ds_read_b128 v[4:7], v2 offset:1536
	s_waitcnt lgkmcnt(1)
	v_dot2_f32_f16 v52, v16, v8, v52
	v_dot2_f32_f16 v53, v16, v9, v53
	;; [unrolled: 1-line block ×16, first 2 shown]
	ds_read_b128 v[8:11], v3 offset:17920
	v_dot2_f32_f16 v68, v16, v12, v68
	v_dot2_f32_f16 v69, v16, v13, v69
	;; [unrolled: 1-line block ×16, first 2 shown]
	ds_read_b128 v[12:15], v3 offset:18176
	ds_read_b128 v[16:19], v2 offset:1792
	s_waitcnt lgkmcnt(2)
	v_dot2_f32_f16 v20, v4, v8, v20
	v_dot2_f32_f16 v21, v4, v9, v21
	;; [unrolled: 1-line block ×16, first 2 shown]
	s_waitcnt lgkmcnt(1)
	v_dot2_f32_f16 v36, v4, v12, v36
	v_dot2_f32_f16 v37, v4, v13, v37
	;; [unrolled: 1-line block ×16, first 2 shown]
	ds_read_b128 v[4:7], v2 offset:2048
	s_waitcnt lgkmcnt(1)
	v_dot2_f32_f16 v52, v16, v8, v52
	v_dot2_f32_f16 v53, v16, v9, v53
	;; [unrolled: 1-line block ×16, first 2 shown]
	ds_read_b128 v[8:11], v3 offset:18432
	v_dot2_f32_f16 v68, v16, v12, v68
	v_dot2_f32_f16 v69, v16, v13, v69
	v_dot2_f32_f16 v70, v16, v14, v70
	v_dot2_f32_f16 v71, v16, v15, v71
	v_dot2_f32_f16 v72, v17, v12, v72
	v_dot2_f32_f16 v73, v17, v13, v73
	v_dot2_f32_f16 v74, v17, v14, v74
	v_dot2_f32_f16 v75, v17, v15, v75
	v_dot2_f32_f16 v76, v18, v12, v76
	v_dot2_f32_f16 v77, v18, v13, v77
	v_dot2_f32_f16 v78, v18, v14, v78
	v_dot2_f32_f16 v79, v18, v15, v79
	v_dot2_f32_f16 v80, v19, v12, v80
	v_dot2_f32_f16 v81, v19, v13, v81
	v_dot2_f32_f16 v82, v19, v14, v82
	v_dot2_f32_f16 v83, v19, v15, v83
	ds_read_b128 v[12:15], v3 offset:18688
	ds_read_b128 v[16:19], v2 offset:2304
	s_waitcnt lgkmcnt(2)
	v_dot2_f32_f16 v20, v4, v8, v20
	v_dot2_f32_f16 v21, v4, v9, v21
	;; [unrolled: 1-line block ×16, first 2 shown]
	s_waitcnt lgkmcnt(1)
	v_dot2_f32_f16 v36, v4, v12, v36
	v_dot2_f32_f16 v37, v4, v13, v37
	;; [unrolled: 1-line block ×16, first 2 shown]
	ds_read_b128 v[4:7], v2 offset:2560
	s_waitcnt lgkmcnt(1)
	v_dot2_f32_f16 v52, v16, v8, v52
	v_dot2_f32_f16 v53, v16, v9, v53
	;; [unrolled: 1-line block ×16, first 2 shown]
	ds_read_b128 v[8:11], v3 offset:18944
	v_dot2_f32_f16 v68, v16, v12, v68
	v_dot2_f32_f16 v69, v16, v13, v69
	;; [unrolled: 1-line block ×16, first 2 shown]
	ds_read_b128 v[12:15], v3 offset:19200
	ds_read_b128 v[16:19], v2 offset:2816
	s_waitcnt lgkmcnt(2)
	v_dot2_f32_f16 v20, v4, v8, v20
	v_dot2_f32_f16 v21, v4, v9, v21
	;; [unrolled: 1-line block ×16, first 2 shown]
	s_waitcnt lgkmcnt(1)
	v_dot2_f32_f16 v36, v4, v12, v36
	v_dot2_f32_f16 v37, v4, v13, v37
	;; [unrolled: 1-line block ×16, first 2 shown]
	ds_read_b128 v[4:7], v2 offset:3072
	s_waitcnt lgkmcnt(1)
	v_dot2_f32_f16 v52, v16, v8, v52
	v_dot2_f32_f16 v53, v16, v9, v53
	;; [unrolled: 1-line block ×16, first 2 shown]
	ds_read_b128 v[8:11], v3 offset:19456
	v_dot2_f32_f16 v68, v16, v12, v68
	v_dot2_f32_f16 v69, v16, v13, v69
	;; [unrolled: 1-line block ×16, first 2 shown]
	ds_read_b128 v[12:15], v3 offset:19712
	ds_read_b128 v[16:19], v2 offset:3328
	s_waitcnt lgkmcnt(2)
	v_dot2_f32_f16 v20, v4, v8, v20
	v_dot2_f32_f16 v21, v4, v9, v21
	;; [unrolled: 1-line block ×16, first 2 shown]
	s_waitcnt lgkmcnt(1)
	v_dot2_f32_f16 v36, v4, v12, v36
	v_dot2_f32_f16 v37, v4, v13, v37
	;; [unrolled: 1-line block ×16, first 2 shown]
	ds_read_b128 v[4:7], v2 offset:3584
	s_waitcnt lgkmcnt(1)
	v_dot2_f32_f16 v52, v16, v8, v52
	v_dot2_f32_f16 v53, v16, v9, v53
	v_dot2_f32_f16 v54, v16, v10, v54
	v_dot2_f32_f16 v55, v16, v11, v55
	v_dot2_f32_f16 v56, v17, v8, v56
	v_dot2_f32_f16 v57, v17, v9, v57
	v_dot2_f32_f16 v58, v17, v10, v58
	v_dot2_f32_f16 v59, v17, v11, v59
	v_dot2_f32_f16 v60, v18, v8, v60
	v_dot2_f32_f16 v61, v18, v9, v61
	v_dot2_f32_f16 v62, v18, v10, v62
	v_dot2_f32_f16 v63, v18, v11, v63
	v_dot2_f32_f16 v64, v19, v8, v64
	v_dot2_f32_f16 v65, v19, v9, v65
	v_dot2_f32_f16 v66, v19, v10, v66
	v_dot2_f32_f16 v67, v19, v11, v67
	ds_read_b128 v[8:11], v3 offset:19968
	v_dot2_f32_f16 v68, v16, v12, v68
	v_dot2_f32_f16 v69, v16, v13, v69
	;; [unrolled: 1-line block ×16, first 2 shown]
	ds_read_b128 v[12:15], v3 offset:20224
	ds_read_b128 v[16:19], v2 offset:3840
	s_waitcnt lgkmcnt(2)
	v_dot2_f32_f16 v20, v4, v8, v20
	v_dot2_f32_f16 v21, v4, v9, v21
	;; [unrolled: 1-line block ×16, first 2 shown]
	s_waitcnt lgkmcnt(1)
	v_dot2_f32_f16 v36, v4, v12, v36
	v_dot2_f32_f16 v37, v4, v13, v37
	;; [unrolled: 1-line block ×16, first 2 shown]
	ds_read_b128 v[4:7], v2 offset:4096
	s_waitcnt lgkmcnt(1)
	v_dot2_f32_f16 v52, v16, v8, v52
	v_dot2_f32_f16 v53, v16, v9, v53
	;; [unrolled: 1-line block ×16, first 2 shown]
	ds_read_b128 v[8:11], v3 offset:20480
	v_dot2_f32_f16 v68, v16, v12, v68
	v_dot2_f32_f16 v69, v16, v13, v69
	;; [unrolled: 1-line block ×16, first 2 shown]
	ds_read_b128 v[12:15], v3 offset:20736
	ds_read_b128 v[16:19], v2 offset:4352
	s_waitcnt lgkmcnt(2)
	v_dot2_f32_f16 v20, v4, v8, v20
	v_dot2_f32_f16 v21, v4, v9, v21
	;; [unrolled: 1-line block ×16, first 2 shown]
	s_waitcnt lgkmcnt(1)
	v_dot2_f32_f16 v36, v4, v12, v36
	v_dot2_f32_f16 v37, v4, v13, v37
	;; [unrolled: 1-line block ×16, first 2 shown]
	ds_read_b128 v[4:7], v2 offset:4608
	s_waitcnt lgkmcnt(1)
	v_dot2_f32_f16 v52, v16, v8, v52
	v_dot2_f32_f16 v53, v16, v9, v53
	;; [unrolled: 1-line block ×16, first 2 shown]
	ds_read_b128 v[8:11], v3 offset:20992
	v_dot2_f32_f16 v68, v16, v12, v68
	v_dot2_f32_f16 v69, v16, v13, v69
	;; [unrolled: 1-line block ×16, first 2 shown]
	ds_read_b128 v[12:15], v3 offset:21248
	ds_read_b128 v[16:19], v2 offset:4864
	s_waitcnt lgkmcnt(2)
	v_dot2_f32_f16 v20, v4, v8, v20
	v_dot2_f32_f16 v21, v4, v9, v21
	;; [unrolled: 1-line block ×16, first 2 shown]
	s_waitcnt lgkmcnt(1)
	v_dot2_f32_f16 v36, v4, v12, v36
	v_dot2_f32_f16 v37, v4, v13, v37
	;; [unrolled: 1-line block ×16, first 2 shown]
	ds_read_b128 v[4:7], v2 offset:5120
	s_waitcnt lgkmcnt(1)
	v_dot2_f32_f16 v52, v16, v8, v52
	v_dot2_f32_f16 v53, v16, v9, v53
	v_dot2_f32_f16 v54, v16, v10, v54
	v_dot2_f32_f16 v55, v16, v11, v55
	v_dot2_f32_f16 v56, v17, v8, v56
	v_dot2_f32_f16 v57, v17, v9, v57
	v_dot2_f32_f16 v58, v17, v10, v58
	v_dot2_f32_f16 v59, v17, v11, v59
	v_dot2_f32_f16 v60, v18, v8, v60
	v_dot2_f32_f16 v61, v18, v9, v61
	v_dot2_f32_f16 v62, v18, v10, v62
	v_dot2_f32_f16 v63, v18, v11, v63
	v_dot2_f32_f16 v64, v19, v8, v64
	v_dot2_f32_f16 v65, v19, v9, v65
	v_dot2_f32_f16 v66, v19, v10, v66
	v_dot2_f32_f16 v67, v19, v11, v67
	ds_read_b128 v[8:11], v3 offset:21504
	v_dot2_f32_f16 v68, v16, v12, v68
	v_dot2_f32_f16 v69, v16, v13, v69
	;; [unrolled: 1-line block ×16, first 2 shown]
	ds_read_b128 v[12:15], v3 offset:21760
	ds_read_b128 v[16:19], v2 offset:5376
	s_waitcnt lgkmcnt(2)
	v_dot2_f32_f16 v20, v4, v8, v20
	v_dot2_f32_f16 v21, v4, v9, v21
	v_dot2_f32_f16 v22, v4, v10, v22
	v_dot2_f32_f16 v23, v4, v11, v23
	v_dot2_f32_f16 v24, v5, v8, v24
	v_dot2_f32_f16 v25, v5, v9, v25
	v_dot2_f32_f16 v26, v5, v10, v26
	v_dot2_f32_f16 v27, v5, v11, v27
	v_dot2_f32_f16 v28, v6, v8, v28
	v_dot2_f32_f16 v29, v6, v9, v29
	v_dot2_f32_f16 v30, v6, v10, v30
	v_dot2_f32_f16 v31, v6, v11, v31
	v_dot2_f32_f16 v32, v7, v8, v32
	v_dot2_f32_f16 v33, v7, v9, v33
	v_dot2_f32_f16 v34, v7, v10, v34
	v_dot2_f32_f16 v35, v7, v11, v35
	s_waitcnt lgkmcnt(1)
	v_dot2_f32_f16 v36, v4, v12, v36
	v_dot2_f32_f16 v37, v4, v13, v37
	;; [unrolled: 1-line block ×16, first 2 shown]
	ds_read_b128 v[4:7], v2 offset:5632
	s_waitcnt lgkmcnt(1)
	v_dot2_f32_f16 v52, v16, v8, v52
	v_dot2_f32_f16 v53, v16, v9, v53
	;; [unrolled: 1-line block ×16, first 2 shown]
	ds_read_b128 v[8:11], v3 offset:22016
	v_dot2_f32_f16 v68, v16, v12, v68
	v_dot2_f32_f16 v69, v16, v13, v69
	;; [unrolled: 1-line block ×16, first 2 shown]
	ds_read_b128 v[12:15], v3 offset:22272
	ds_read_b128 v[16:19], v2 offset:5888
	s_waitcnt lgkmcnt(2)
	v_dot2_f32_f16 v20, v4, v8, v20
	v_dot2_f32_f16 v21, v4, v9, v21
	;; [unrolled: 1-line block ×16, first 2 shown]
	s_waitcnt lgkmcnt(1)
	v_dot2_f32_f16 v36, v4, v12, v36
	v_dot2_f32_f16 v37, v4, v13, v37
	;; [unrolled: 1-line block ×16, first 2 shown]
	ds_read_b128 v[4:7], v2 offset:6144
	s_waitcnt lgkmcnt(1)
	v_dot2_f32_f16 v52, v16, v8, v52
	v_dot2_f32_f16 v53, v16, v9, v53
	v_dot2_f32_f16 v54, v16, v10, v54
	v_dot2_f32_f16 v55, v16, v11, v55
	v_dot2_f32_f16 v56, v17, v8, v56
	v_dot2_f32_f16 v57, v17, v9, v57
	v_dot2_f32_f16 v58, v17, v10, v58
	v_dot2_f32_f16 v59, v17, v11, v59
	v_dot2_f32_f16 v60, v18, v8, v60
	v_dot2_f32_f16 v61, v18, v9, v61
	v_dot2_f32_f16 v62, v18, v10, v62
	v_dot2_f32_f16 v63, v18, v11, v63
	v_dot2_f32_f16 v64, v19, v8, v64
	v_dot2_f32_f16 v65, v19, v9, v65
	v_dot2_f32_f16 v66, v19, v10, v66
	v_dot2_f32_f16 v67, v19, v11, v67
	ds_read_b128 v[8:11], v3 offset:22528
	v_dot2_f32_f16 v68, v16, v12, v68
	v_dot2_f32_f16 v69, v16, v13, v69
	v_dot2_f32_f16 v70, v16, v14, v70
	v_dot2_f32_f16 v71, v16, v15, v71
	v_dot2_f32_f16 v72, v17, v12, v72
	v_dot2_f32_f16 v73, v17, v13, v73
	v_dot2_f32_f16 v74, v17, v14, v74
	v_dot2_f32_f16 v75, v17, v15, v75
	v_dot2_f32_f16 v76, v18, v12, v76
	v_dot2_f32_f16 v77, v18, v13, v77
	v_dot2_f32_f16 v78, v18, v14, v78
	v_dot2_f32_f16 v79, v18, v15, v79
	v_dot2_f32_f16 v80, v19, v12, v80
	v_dot2_f32_f16 v81, v19, v13, v81
	v_dot2_f32_f16 v82, v19, v14, v82
	v_dot2_f32_f16 v83, v19, v15, v83
	ds_read_b128 v[12:15], v3 offset:22784
	ds_read_b128 v[16:19], v2 offset:6400
	s_waitcnt lgkmcnt(2)
	v_dot2_f32_f16 v20, v4, v8, v20
	v_dot2_f32_f16 v21, v4, v9, v21
	;; [unrolled: 1-line block ×16, first 2 shown]
	s_waitcnt lgkmcnt(1)
	v_dot2_f32_f16 v36, v4, v12, v36
	v_dot2_f32_f16 v37, v4, v13, v37
	;; [unrolled: 1-line block ×16, first 2 shown]
	ds_read_b128 v[4:7], v2 offset:6656
	s_waitcnt lgkmcnt(1)
	v_dot2_f32_f16 v52, v16, v8, v52
	v_dot2_f32_f16 v53, v16, v9, v53
	v_dot2_f32_f16 v54, v16, v10, v54
	v_dot2_f32_f16 v55, v16, v11, v55
	v_dot2_f32_f16 v56, v17, v8, v56
	v_dot2_f32_f16 v57, v17, v9, v57
	v_dot2_f32_f16 v58, v17, v10, v58
	v_dot2_f32_f16 v59, v17, v11, v59
	v_dot2_f32_f16 v60, v18, v8, v60
	v_dot2_f32_f16 v61, v18, v9, v61
	v_dot2_f32_f16 v62, v18, v10, v62
	v_dot2_f32_f16 v63, v18, v11, v63
	v_dot2_f32_f16 v64, v19, v8, v64
	v_dot2_f32_f16 v65, v19, v9, v65
	v_dot2_f32_f16 v66, v19, v10, v66
	v_dot2_f32_f16 v67, v19, v11, v67
	ds_read_b128 v[8:11], v3 offset:23040
	v_dot2_f32_f16 v68, v16, v12, v68
	v_dot2_f32_f16 v69, v16, v13, v69
	;; [unrolled: 1-line block ×16, first 2 shown]
	ds_read_b128 v[12:15], v3 offset:23296
	ds_read_b128 v[16:19], v2 offset:6912
	s_waitcnt lgkmcnt(2)
	v_dot2_f32_f16 v20, v4, v8, v20
	v_dot2_f32_f16 v21, v4, v9, v21
	;; [unrolled: 1-line block ×16, first 2 shown]
	s_waitcnt lgkmcnt(1)
	v_dot2_f32_f16 v36, v4, v12, v36
	v_dot2_f32_f16 v37, v4, v13, v37
	v_dot2_f32_f16 v38, v4, v14, v38
	v_dot2_f32_f16 v39, v4, v15, v39
	v_dot2_f32_f16 v40, v5, v12, v40
	v_dot2_f32_f16 v41, v5, v13, v41
	v_dot2_f32_f16 v42, v5, v14, v42
	v_dot2_f32_f16 v43, v5, v15, v43
	v_dot2_f32_f16 v44, v6, v12, v44
	v_dot2_f32_f16 v45, v6, v13, v45
	v_dot2_f32_f16 v46, v6, v14, v46
	v_dot2_f32_f16 v47, v6, v15, v47
	v_dot2_f32_f16 v48, v7, v12, v48
	v_dot2_f32_f16 v49, v7, v13, v49
	v_dot2_f32_f16 v50, v7, v14, v50
	v_dot2_f32_f16 v51, v7, v15, v51
	ds_read_b128 v[4:7], v2 offset:7168
	s_waitcnt lgkmcnt(1)
	v_dot2_f32_f16 v52, v16, v8, v52
	v_dot2_f32_f16 v53, v16, v9, v53
	;; [unrolled: 1-line block ×16, first 2 shown]
	ds_read_b128 v[8:11], v3 offset:23552
	v_dot2_f32_f16 v68, v16, v12, v68
	v_dot2_f32_f16 v69, v16, v13, v69
	;; [unrolled: 1-line block ×16, first 2 shown]
	ds_read_b128 v[12:15], v3 offset:23808
	ds_read_b128 v[16:19], v2 offset:7424
	s_waitcnt lgkmcnt(2)
	v_dot2_f32_f16 v20, v4, v8, v20
	v_dot2_f32_f16 v21, v4, v9, v21
	;; [unrolled: 1-line block ×16, first 2 shown]
	s_waitcnt lgkmcnt(1)
	v_dot2_f32_f16 v36, v4, v12, v36
	v_dot2_f32_f16 v37, v4, v13, v37
	;; [unrolled: 1-line block ×16, first 2 shown]
	ds_read_b128 v[4:7], v2 offset:7680
	s_waitcnt lgkmcnt(1)
	v_dot2_f32_f16 v52, v16, v8, v52
	v_dot2_f32_f16 v53, v16, v9, v53
	;; [unrolled: 1-line block ×16, first 2 shown]
	ds_read_b128 v[8:11], v3 offset:24064
	v_dot2_f32_f16 v68, v16, v12, v68
	v_dot2_f32_f16 v69, v16, v13, v69
	;; [unrolled: 1-line block ×16, first 2 shown]
	ds_read_b128 v[12:15], v3 offset:24320
	ds_read_b128 v[16:19], v2 offset:7936
	s_waitcnt lgkmcnt(2)
	v_dot2_f32_f16 v2, v4, v8, v20
	v_dot2_f32_f16 v3, v4, v9, v21
	;; [unrolled: 1-line block ×4, first 2 shown]
	v_cvt_f16_f32_e32 v2, v2
	v_cvt_f16_f32_e32 v20, v20
	;; [unrolled: 1-line block ×4, first 2 shown]
	v_dot2_f32_f16 v22, v5, v8, v24
	v_dot2_f32_f16 v23, v5, v9, v25
	;; [unrolled: 1-line block ×12, first 2 shown]
	s_waitcnt lgkmcnt(1)
	v_dot2_f32_f16 v34, v4, v12, v36
	v_dot2_f32_f16 v35, v4, v13, v37
	;; [unrolled: 1-line block ×16, first 2 shown]
	s_waitcnt lgkmcnt(0)
	v_dot2_f32_f16 v46, v16, v8, v52
	v_dot2_f32_f16 v47, v16, v9, v53
	;; [unrolled: 1-line block ×32, first 2 shown]
	v_add3_u32 v19, s3, v1, v0
	v_pack_b32_f16 v1, v20, v21
	v_pack_b32_f16 v0, v2, v3
	v_cvt_f16_f32_e32 v3, v34
	v_cvt_f16_f32_e32 v20, v36
	;; [unrolled: 1-line block ×4, first 2 shown]
	s_mov_b32 s3, s7
	v_lshlrev_b32_e32 v2, 1, v19
	buffer_store_dwordx2 v[0:1], v2, s[0:3], 0 offen
	v_pack_b32_f16 v1, v20, v4
	v_pack_b32_f16 v0, v3, v21
	v_cvt_f16_f32_e32 v3, v37
	v_cvt_f16_f32_e32 v4, v39
	;; [unrolled: 1-line block ×4, first 2 shown]
	v_add_u32_e32 v2, 64, v19
	v_lshlrev_b32_e32 v21, 1, v2
	buffer_store_dwordx2 v[0:1], v21, s[0:3], 0 offen
	v_pack_b32_f16 v1, v4, v5
	v_pack_b32_f16 v0, v3, v20
	v_cvt_f16_f32_e32 v3, v22
	v_cvt_f16_f32_e32 v4, v24
	;; [unrolled: 1-line block ×4, first 2 shown]
	v_add_lshl_u32 v2, v2, s12, 1
	buffer_store_dwordx2 v[0:1], v2, s[0:3], 0 offen
	v_add_u32_e32 v2, s12, v19
	v_pack_b32_f16 v1, v4, v5
	v_pack_b32_f16 v0, v3, v20
	v_cvt_f16_f32_e32 v4, v26
	v_cvt_f16_f32_e32 v5, v28
	;; [unrolled: 1-line block ×4, first 2 shown]
	v_lshlrev_b32_e32 v3, 1, v2
	buffer_store_dwordx2 v[0:1], v3, s[0:3], 0 offen
	v_pack_b32_f16 v1, v5, v19
	v_pack_b32_f16 v0, v4, v20
	v_cvt_f16_f32_e32 v4, v40
	v_cvt_f16_f32_e32 v5, v42
	;; [unrolled: 1-line block ×4, first 2 shown]
	v_add_u32_e32 v2, s12, v2
	v_lshlrev_b32_e32 v3, 1, v2
	buffer_store_dwordx2 v[0:1], v3, s[0:3], 0 offen
	v_pack_b32_f16 v1, v5, v6
	v_pack_b32_f16 v0, v4, v19
	v_cvt_f16_f32_e32 v4, v43
	v_cvt_f16_f32_e32 v5, v45
	;; [unrolled: 1-line block ×4, first 2 shown]
	v_add_u32_e32 v3, 64, v2
	v_lshlrev_b32_e32 v19, 1, v3
	buffer_store_dwordx2 v[0:1], v19, s[0:3], 0 offen
	v_pack_b32_f16 v1, v5, v6
	v_pack_b32_f16 v0, v4, v7
	v_cvt_f16_f32_e32 v4, v30
	v_cvt_f16_f32_e32 v5, v32
	;; [unrolled: 1-line block ×4, first 2 shown]
	v_add_lshl_u32 v3, v3, s12, 1
	buffer_store_dwordx2 v[0:1], v3, s[0:3], 0 offen
	v_pack_b32_f16 v1, v5, v6
	v_pack_b32_f16 v0, v4, v7
	v_cvt_f16_f32_e32 v4, v8
	v_cvt_f16_f32_e32 v5, v10
	;; [unrolled: 1-line block ×4, first 2 shown]
	v_add_u32_e32 v2, s12, v2
	v_lshlrev_b32_e32 v3, 1, v2
	buffer_store_dwordx2 v[0:1], v3, s[0:3], 0 offen
	v_pack_b32_f16 v1, v5, v6
	v_pack_b32_f16 v0, v4, v7
	v_cvt_f16_f32_e32 v4, v12
	v_cvt_f16_f32_e32 v5, v14
	;; [unrolled: 1-line block ×4, first 2 shown]
	v_lshl_add_u32 v2, s12, 6, v2
	v_lshlrev_b32_e32 v3, 1, v2
	buffer_store_dwordx2 v[0:1], v3, s[0:3], 0 offen
	v_pack_b32_f16 v1, v5, v6
	v_pack_b32_f16 v0, v4, v7
	v_cvt_f16_f32_e32 v4, v64
	v_cvt_f16_f32_e32 v5, v66
	;; [unrolled: 1-line block ×4, first 2 shown]
	v_add_u32_e32 v2, 64, v2
	v_lshlrev_b32_e32 v3, 1, v2
	buffer_store_dwordx2 v[0:1], v3, s[0:3], 0 offen
	v_pack_b32_f16 v1, v5, v6
	v_pack_b32_f16 v0, v4, v7
	v_cvt_f16_f32_e32 v4, v54
	v_cvt_f16_f32_e32 v5, v56
	v_cvt_f16_f32_e32 v6, v57
	v_cvt_f16_f32_e32 v7, v55
	v_subrev_u32_e32 v2, s12, v2
	v_lshlrev_b32_e32 v3, 1, v2
	buffer_store_dwordx2 v[0:1], v3, s[0:3], 0 offen
	v_pack_b32_f16 v1, v5, v6
	v_pack_b32_f16 v0, v4, v7
	v_cvt_f16_f32_e32 v4, v50
	v_cvt_f16_f32_e32 v5, v52
	v_cvt_f16_f32_e32 v6, v53
	v_cvt_f16_f32_e32 v7, v51
	v_subrev_u32_e32 v2, 64, v2
	;; [unrolled: 9-line block ×3, first 2 shown]
	v_lshlrev_b32_e32 v3, 1, v2
	buffer_store_dwordx2 v[0:1], v3, s[0:3], 0 offen
	v_pack_b32_f16 v1, v5, v6
	v_pack_b32_f16 v0, v4, v7
	v_cvt_f16_f32_e32 v4, v58
	v_cvt_f16_f32_e32 v5, v60
	;; [unrolled: 1-line block ×4, first 2 shown]
	v_add_u32_e32 v2, 64, v2
	v_lshlrev_b32_e32 v3, 1, v2
	buffer_store_dwordx2 v[0:1], v3, s[0:3], 0 offen
	v_pack_b32_f16 v1, v5, v6
	v_pack_b32_f16 v0, v4, v7
	v_cvt_f16_f32_e32 v3, v46
	v_cvt_f16_f32_e32 v4, v48
	;; [unrolled: 1-line block ×4, first 2 shown]
	v_subrev_u32_e32 v2, s12, v2
	v_lshlrev_b32_e32 v2, 1, v2
	buffer_store_dwordx2 v[0:1], v2, s[0:3], 0 offen
	v_pack_b32_f16 v1, v4, v5
	v_pack_b32_f16 v0, v3, v6
	v_add_u32_e32 v2, 0xffffff80, v2
	buffer_store_dwordx2 v[0:1], v2, s[0:3], 0 offen
	s_endpgm
	.section	.rodata,"a",@progbits
	.p2align	6, 0x0
	.amdhsa_kernel _ZN2ck19kernel_gemm_dl_v1r3INS_28GridwiseGemmDl_km_kn_mn_v1r3ILi256EDF16_fDF16_LNS_25InMemoryDataOperationEnumE0ENS_16TensorDescriptorINS_5TupleIJNS_5EmbedINS4_IJiiEEENS4_IJNS_17integral_constantIiLi1EEEiEEELb0EEENS_7UnMergeINS4_IJiNS7_IiLi2EEEEEELb0EEENS_11PassThroughIiEEEEENS4_IJNS_8SequenceIJLi0EEEENSI_IJLi2EEEENSI_IJLi1EEEEEEENS4_IJNSI_IJLi1ELi2EEEENSI_IJLi3ELi4EEEENSI_IJLi5EEEEEEENSI_IJLi3ELi5ELi4EEEElEENS3_INS4_IJNS5_IS6_NS4_IJiS8_EEELb0EEESE_SG_EEENS4_IJSJ_SL_SK_EEESQ_SR_lEENS3_INS4_IJSU_SG_SG_EEESW_NS4_IJSN_NSI_IJLi3EEEENSI_IJLi4EEEEEEESO_lEELi128ELi128ELi16ELi2ELi4ELi4ELi1ENSI_IJLi8ELi2EEEES13_NSI_IJLi2ELi1ELi4ELi2EEEENSI_IJLi8ELi1ELi32ELi1EEEENSI_IJLi0ELi3ELi1ELi2EEEES16_NSI_IJLi1ELi1ELi4ELi1EEEES16_NSI_IJLi1ELi1ELi4ELi2EEEES14_S15_S16_S16_S17_S16_S18_NSI_IJLi0ELi1ELi2ELi3ELi4ELi5EEEELi5ELi4EEEDF16_DF16_NS3_INS4_IJSA_SE_SG_SG_NSB_INS4_IJiNS7_IiLi128EEEEEELb0EEENSF_ISC_EEEEENS4_IJSJ_SK_SL_SZ_SP_S10_EEENS4_IJSN_SO_SP_NSI_IJLi6EEEENSI_IJLi7ELi8EEEENSI_IJLi9EEEEEEENSI_IJLi6ELi7ELi8ELi9EEEElEENS3_INS4_IJSU_SE_SG_SG_S1D_S1E_EEENS4_IJSJ_SL_SK_SZ_SP_S10_EEES1K_S1L_lEENS3_INS4_IJSU_SG_SG_NSB_INS4_IJiSC_NS7_IiLi64EEEEEELb0EEES1S_EEENS4_IJSJ_SL_SK_SZ_S10_EEENS4_IJSN_SZ_S10_NSI_IJLi5ELi6ELi7EEEENSI_IJLi8ELi9ELi10EEEEEEENSI_IJLi5ELi6ELi7ELi8ELi9ELi10EEEElEENS_31BlockToCTileMap_M00_N00_M01_N01ILi128ELi128ES12_Lb0EEELb0ELb0EEEvPKT0_S24_PT1_T2_T3_T4_T5_
		.amdhsa_group_segment_fixed_size 32768
		.amdhsa_private_segment_fixed_size 0
		.amdhsa_kernarg_size 328
		.amdhsa_user_sgpr_count 6
		.amdhsa_user_sgpr_private_segment_buffer 1
		.amdhsa_user_sgpr_dispatch_ptr 0
		.amdhsa_user_sgpr_queue_ptr 0
		.amdhsa_user_sgpr_kernarg_segment_ptr 1
		.amdhsa_user_sgpr_dispatch_id 0
		.amdhsa_user_sgpr_flat_scratch_init 0
		.amdhsa_user_sgpr_private_segment_size 0
		.amdhsa_uses_dynamic_stack 0
		.amdhsa_system_sgpr_private_segment_wavefront_offset 0
		.amdhsa_system_sgpr_workgroup_id_x 1
		.amdhsa_system_sgpr_workgroup_id_y 0
		.amdhsa_system_sgpr_workgroup_id_z 0
		.amdhsa_system_sgpr_workgroup_info 0
		.amdhsa_system_vgpr_workitem_id 0
		.amdhsa_next_free_vgpr 85
		.amdhsa_next_free_sgpr 98
		.amdhsa_reserve_vcc 0
		.amdhsa_reserve_flat_scratch 0
		.amdhsa_float_round_mode_32 0
		.amdhsa_float_round_mode_16_64 0
		.amdhsa_float_denorm_mode_32 3
		.amdhsa_float_denorm_mode_16_64 3
		.amdhsa_dx10_clamp 1
		.amdhsa_ieee_mode 1
		.amdhsa_fp16_overflow 0
		.amdhsa_exception_fp_ieee_invalid_op 0
		.amdhsa_exception_fp_denorm_src 0
		.amdhsa_exception_fp_ieee_div_zero 0
		.amdhsa_exception_fp_ieee_overflow 0
		.amdhsa_exception_fp_ieee_underflow 0
		.amdhsa_exception_fp_ieee_inexact 0
		.amdhsa_exception_int_div_zero 0
	.end_amdhsa_kernel
	.section	.text._ZN2ck19kernel_gemm_dl_v1r3INS_28GridwiseGemmDl_km_kn_mn_v1r3ILi256EDF16_fDF16_LNS_25InMemoryDataOperationEnumE0ENS_16TensorDescriptorINS_5TupleIJNS_5EmbedINS4_IJiiEEENS4_IJNS_17integral_constantIiLi1EEEiEEELb0EEENS_7UnMergeINS4_IJiNS7_IiLi2EEEEEELb0EEENS_11PassThroughIiEEEEENS4_IJNS_8SequenceIJLi0EEEENSI_IJLi2EEEENSI_IJLi1EEEEEEENS4_IJNSI_IJLi1ELi2EEEENSI_IJLi3ELi4EEEENSI_IJLi5EEEEEEENSI_IJLi3ELi5ELi4EEEElEENS3_INS4_IJNS5_IS6_NS4_IJiS8_EEELb0EEESE_SG_EEENS4_IJSJ_SL_SK_EEESQ_SR_lEENS3_INS4_IJSU_SG_SG_EEESW_NS4_IJSN_NSI_IJLi3EEEENSI_IJLi4EEEEEEESO_lEELi128ELi128ELi16ELi2ELi4ELi4ELi1ENSI_IJLi8ELi2EEEES13_NSI_IJLi2ELi1ELi4ELi2EEEENSI_IJLi8ELi1ELi32ELi1EEEENSI_IJLi0ELi3ELi1ELi2EEEES16_NSI_IJLi1ELi1ELi4ELi1EEEES16_NSI_IJLi1ELi1ELi4ELi2EEEES14_S15_S16_S16_S17_S16_S18_NSI_IJLi0ELi1ELi2ELi3ELi4ELi5EEEELi5ELi4EEEDF16_DF16_NS3_INS4_IJSA_SE_SG_SG_NSB_INS4_IJiNS7_IiLi128EEEEEELb0EEENSF_ISC_EEEEENS4_IJSJ_SK_SL_SZ_SP_S10_EEENS4_IJSN_SO_SP_NSI_IJLi6EEEENSI_IJLi7ELi8EEEENSI_IJLi9EEEEEEENSI_IJLi6ELi7ELi8ELi9EEEElEENS3_INS4_IJSU_SE_SG_SG_S1D_S1E_EEENS4_IJSJ_SL_SK_SZ_SP_S10_EEES1K_S1L_lEENS3_INS4_IJSU_SG_SG_NSB_INS4_IJiSC_NS7_IiLi64EEEEEELb0EEES1S_EEENS4_IJSJ_SL_SK_SZ_S10_EEENS4_IJSN_SZ_S10_NSI_IJLi5ELi6ELi7EEEENSI_IJLi8ELi9ELi10EEEEEEENSI_IJLi5ELi6ELi7ELi8ELi9ELi10EEEElEENS_31BlockToCTileMap_M00_N00_M01_N01ILi128ELi128ES12_Lb0EEELb0ELb0EEEvPKT0_S24_PT1_T2_T3_T4_T5_,"axG",@progbits,_ZN2ck19kernel_gemm_dl_v1r3INS_28GridwiseGemmDl_km_kn_mn_v1r3ILi256EDF16_fDF16_LNS_25InMemoryDataOperationEnumE0ENS_16TensorDescriptorINS_5TupleIJNS_5EmbedINS4_IJiiEEENS4_IJNS_17integral_constantIiLi1EEEiEEELb0EEENS_7UnMergeINS4_IJiNS7_IiLi2EEEEEELb0EEENS_11PassThroughIiEEEEENS4_IJNS_8SequenceIJLi0EEEENSI_IJLi2EEEENSI_IJLi1EEEEEEENS4_IJNSI_IJLi1ELi2EEEENSI_IJLi3ELi4EEEENSI_IJLi5EEEEEEENSI_IJLi3ELi5ELi4EEEElEENS3_INS4_IJNS5_IS6_NS4_IJiS8_EEELb0EEESE_SG_EEENS4_IJSJ_SL_SK_EEESQ_SR_lEENS3_INS4_IJSU_SG_SG_EEESW_NS4_IJSN_NSI_IJLi3EEEENSI_IJLi4EEEEEEESO_lEELi128ELi128ELi16ELi2ELi4ELi4ELi1ENSI_IJLi8ELi2EEEES13_NSI_IJLi2ELi1ELi4ELi2EEEENSI_IJLi8ELi1ELi32ELi1EEEENSI_IJLi0ELi3ELi1ELi2EEEES16_NSI_IJLi1ELi1ELi4ELi1EEEES16_NSI_IJLi1ELi1ELi4ELi2EEEES14_S15_S16_S16_S17_S16_S18_NSI_IJLi0ELi1ELi2ELi3ELi4ELi5EEEELi5ELi4EEEDF16_DF16_NS3_INS4_IJSA_SE_SG_SG_NSB_INS4_IJiNS7_IiLi128EEEEEELb0EEENSF_ISC_EEEEENS4_IJSJ_SK_SL_SZ_SP_S10_EEENS4_IJSN_SO_SP_NSI_IJLi6EEEENSI_IJLi7ELi8EEEENSI_IJLi9EEEEEEENSI_IJLi6ELi7ELi8ELi9EEEElEENS3_INS4_IJSU_SE_SG_SG_S1D_S1E_EEENS4_IJSJ_SL_SK_SZ_SP_S10_EEES1K_S1L_lEENS3_INS4_IJSU_SG_SG_NSB_INS4_IJiSC_NS7_IiLi64EEEEEELb0EEES1S_EEENS4_IJSJ_SL_SK_SZ_S10_EEENS4_IJSN_SZ_S10_NSI_IJLi5ELi6ELi7EEEENSI_IJLi8ELi9ELi10EEEEEEENSI_IJLi5ELi6ELi7ELi8ELi9ELi10EEEElEENS_31BlockToCTileMap_M00_N00_M01_N01ILi128ELi128ES12_Lb0EEELb0ELb0EEEvPKT0_S24_PT1_T2_T3_T4_T5_,comdat
.Lfunc_end4:
	.size	_ZN2ck19kernel_gemm_dl_v1r3INS_28GridwiseGemmDl_km_kn_mn_v1r3ILi256EDF16_fDF16_LNS_25InMemoryDataOperationEnumE0ENS_16TensorDescriptorINS_5TupleIJNS_5EmbedINS4_IJiiEEENS4_IJNS_17integral_constantIiLi1EEEiEEELb0EEENS_7UnMergeINS4_IJiNS7_IiLi2EEEEEELb0EEENS_11PassThroughIiEEEEENS4_IJNS_8SequenceIJLi0EEEENSI_IJLi2EEEENSI_IJLi1EEEEEEENS4_IJNSI_IJLi1ELi2EEEENSI_IJLi3ELi4EEEENSI_IJLi5EEEEEEENSI_IJLi3ELi5ELi4EEEElEENS3_INS4_IJNS5_IS6_NS4_IJiS8_EEELb0EEESE_SG_EEENS4_IJSJ_SL_SK_EEESQ_SR_lEENS3_INS4_IJSU_SG_SG_EEESW_NS4_IJSN_NSI_IJLi3EEEENSI_IJLi4EEEEEEESO_lEELi128ELi128ELi16ELi2ELi4ELi4ELi1ENSI_IJLi8ELi2EEEES13_NSI_IJLi2ELi1ELi4ELi2EEEENSI_IJLi8ELi1ELi32ELi1EEEENSI_IJLi0ELi3ELi1ELi2EEEES16_NSI_IJLi1ELi1ELi4ELi1EEEES16_NSI_IJLi1ELi1ELi4ELi2EEEES14_S15_S16_S16_S17_S16_S18_NSI_IJLi0ELi1ELi2ELi3ELi4ELi5EEEELi5ELi4EEEDF16_DF16_NS3_INS4_IJSA_SE_SG_SG_NSB_INS4_IJiNS7_IiLi128EEEEEELb0EEENSF_ISC_EEEEENS4_IJSJ_SK_SL_SZ_SP_S10_EEENS4_IJSN_SO_SP_NSI_IJLi6EEEENSI_IJLi7ELi8EEEENSI_IJLi9EEEEEEENSI_IJLi6ELi7ELi8ELi9EEEElEENS3_INS4_IJSU_SE_SG_SG_S1D_S1E_EEENS4_IJSJ_SL_SK_SZ_SP_S10_EEES1K_S1L_lEENS3_INS4_IJSU_SG_SG_NSB_INS4_IJiSC_NS7_IiLi64EEEEEELb0EEES1S_EEENS4_IJSJ_SL_SK_SZ_S10_EEENS4_IJSN_SZ_S10_NSI_IJLi5ELi6ELi7EEEENSI_IJLi8ELi9ELi10EEEEEEENSI_IJLi5ELi6ELi7ELi8ELi9ELi10EEEElEENS_31BlockToCTileMap_M00_N00_M01_N01ILi128ELi128ES12_Lb0EEELb0ELb0EEEvPKT0_S24_PT1_T2_T3_T4_T5_, .Lfunc_end4-_ZN2ck19kernel_gemm_dl_v1r3INS_28GridwiseGemmDl_km_kn_mn_v1r3ILi256EDF16_fDF16_LNS_25InMemoryDataOperationEnumE0ENS_16TensorDescriptorINS_5TupleIJNS_5EmbedINS4_IJiiEEENS4_IJNS_17integral_constantIiLi1EEEiEEELb0EEENS_7UnMergeINS4_IJiNS7_IiLi2EEEEEELb0EEENS_11PassThroughIiEEEEENS4_IJNS_8SequenceIJLi0EEEENSI_IJLi2EEEENSI_IJLi1EEEEEEENS4_IJNSI_IJLi1ELi2EEEENSI_IJLi3ELi4EEEENSI_IJLi5EEEEEEENSI_IJLi3ELi5ELi4EEEElEENS3_INS4_IJNS5_IS6_NS4_IJiS8_EEELb0EEESE_SG_EEENS4_IJSJ_SL_SK_EEESQ_SR_lEENS3_INS4_IJSU_SG_SG_EEESW_NS4_IJSN_NSI_IJLi3EEEENSI_IJLi4EEEEEEESO_lEELi128ELi128ELi16ELi2ELi4ELi4ELi1ENSI_IJLi8ELi2EEEES13_NSI_IJLi2ELi1ELi4ELi2EEEENSI_IJLi8ELi1ELi32ELi1EEEENSI_IJLi0ELi3ELi1ELi2EEEES16_NSI_IJLi1ELi1ELi4ELi1EEEES16_NSI_IJLi1ELi1ELi4ELi2EEEES14_S15_S16_S16_S17_S16_S18_NSI_IJLi0ELi1ELi2ELi3ELi4ELi5EEEELi5ELi4EEEDF16_DF16_NS3_INS4_IJSA_SE_SG_SG_NSB_INS4_IJiNS7_IiLi128EEEEEELb0EEENSF_ISC_EEEEENS4_IJSJ_SK_SL_SZ_SP_S10_EEENS4_IJSN_SO_SP_NSI_IJLi6EEEENSI_IJLi7ELi8EEEENSI_IJLi9EEEEEEENSI_IJLi6ELi7ELi8ELi9EEEElEENS3_INS4_IJSU_SE_SG_SG_S1D_S1E_EEENS4_IJSJ_SL_SK_SZ_SP_S10_EEES1K_S1L_lEENS3_INS4_IJSU_SG_SG_NSB_INS4_IJiSC_NS7_IiLi64EEEEEELb0EEES1S_EEENS4_IJSJ_SL_SK_SZ_S10_EEENS4_IJSN_SZ_S10_NSI_IJLi5ELi6ELi7EEEENSI_IJLi8ELi9ELi10EEEEEEENSI_IJLi5ELi6ELi7ELi8ELi9ELi10EEEElEENS_31BlockToCTileMap_M00_N00_M01_N01ILi128ELi128ES12_Lb0EEELb0ELb0EEEvPKT0_S24_PT1_T2_T3_T4_T5_
                                        ; -- End function
	.set _ZN2ck19kernel_gemm_dl_v1r3INS_28GridwiseGemmDl_km_kn_mn_v1r3ILi256EDF16_fDF16_LNS_25InMemoryDataOperationEnumE0ENS_16TensorDescriptorINS_5TupleIJNS_5EmbedINS4_IJiiEEENS4_IJNS_17integral_constantIiLi1EEEiEEELb0EEENS_7UnMergeINS4_IJiNS7_IiLi2EEEEEELb0EEENS_11PassThroughIiEEEEENS4_IJNS_8SequenceIJLi0EEEENSI_IJLi2EEEENSI_IJLi1EEEEEEENS4_IJNSI_IJLi1ELi2EEEENSI_IJLi3ELi4EEEENSI_IJLi5EEEEEEENSI_IJLi3ELi5ELi4EEEElEENS3_INS4_IJNS5_IS6_NS4_IJiS8_EEELb0EEESE_SG_EEENS4_IJSJ_SL_SK_EEESQ_SR_lEENS3_INS4_IJSU_SG_SG_EEESW_NS4_IJSN_NSI_IJLi3EEEENSI_IJLi4EEEEEEESO_lEELi128ELi128ELi16ELi2ELi4ELi4ELi1ENSI_IJLi8ELi2EEEES13_NSI_IJLi2ELi1ELi4ELi2EEEENSI_IJLi8ELi1ELi32ELi1EEEENSI_IJLi0ELi3ELi1ELi2EEEES16_NSI_IJLi1ELi1ELi4ELi1EEEES16_NSI_IJLi1ELi1ELi4ELi2EEEES14_S15_S16_S16_S17_S16_S18_NSI_IJLi0ELi1ELi2ELi3ELi4ELi5EEEELi5ELi4EEEDF16_DF16_NS3_INS4_IJSA_SE_SG_SG_NSB_INS4_IJiNS7_IiLi128EEEEEELb0EEENSF_ISC_EEEEENS4_IJSJ_SK_SL_SZ_SP_S10_EEENS4_IJSN_SO_SP_NSI_IJLi6EEEENSI_IJLi7ELi8EEEENSI_IJLi9EEEEEEENSI_IJLi6ELi7ELi8ELi9EEEElEENS3_INS4_IJSU_SE_SG_SG_S1D_S1E_EEENS4_IJSJ_SL_SK_SZ_SP_S10_EEES1K_S1L_lEENS3_INS4_IJSU_SG_SG_NSB_INS4_IJiSC_NS7_IiLi64EEEEEELb0EEES1S_EEENS4_IJSJ_SL_SK_SZ_S10_EEENS4_IJSN_SZ_S10_NSI_IJLi5ELi6ELi7EEEENSI_IJLi8ELi9ELi10EEEEEEENSI_IJLi5ELi6ELi7ELi8ELi9ELi10EEEElEENS_31BlockToCTileMap_M00_N00_M01_N01ILi128ELi128ES12_Lb0EEELb0ELb0EEEvPKT0_S24_PT1_T2_T3_T4_T5_.num_vgpr, 84
	.set _ZN2ck19kernel_gemm_dl_v1r3INS_28GridwiseGemmDl_km_kn_mn_v1r3ILi256EDF16_fDF16_LNS_25InMemoryDataOperationEnumE0ENS_16TensorDescriptorINS_5TupleIJNS_5EmbedINS4_IJiiEEENS4_IJNS_17integral_constantIiLi1EEEiEEELb0EEENS_7UnMergeINS4_IJiNS7_IiLi2EEEEEELb0EEENS_11PassThroughIiEEEEENS4_IJNS_8SequenceIJLi0EEEENSI_IJLi2EEEENSI_IJLi1EEEEEEENS4_IJNSI_IJLi1ELi2EEEENSI_IJLi3ELi4EEEENSI_IJLi5EEEEEEENSI_IJLi3ELi5ELi4EEEElEENS3_INS4_IJNS5_IS6_NS4_IJiS8_EEELb0EEESE_SG_EEENS4_IJSJ_SL_SK_EEESQ_SR_lEENS3_INS4_IJSU_SG_SG_EEESW_NS4_IJSN_NSI_IJLi3EEEENSI_IJLi4EEEEEEESO_lEELi128ELi128ELi16ELi2ELi4ELi4ELi1ENSI_IJLi8ELi2EEEES13_NSI_IJLi2ELi1ELi4ELi2EEEENSI_IJLi8ELi1ELi32ELi1EEEENSI_IJLi0ELi3ELi1ELi2EEEES16_NSI_IJLi1ELi1ELi4ELi1EEEES16_NSI_IJLi1ELi1ELi4ELi2EEEES14_S15_S16_S16_S17_S16_S18_NSI_IJLi0ELi1ELi2ELi3ELi4ELi5EEEELi5ELi4EEEDF16_DF16_NS3_INS4_IJSA_SE_SG_SG_NSB_INS4_IJiNS7_IiLi128EEEEEELb0EEENSF_ISC_EEEEENS4_IJSJ_SK_SL_SZ_SP_S10_EEENS4_IJSN_SO_SP_NSI_IJLi6EEEENSI_IJLi7ELi8EEEENSI_IJLi9EEEEEEENSI_IJLi6ELi7ELi8ELi9EEEElEENS3_INS4_IJSU_SE_SG_SG_S1D_S1E_EEENS4_IJSJ_SL_SK_SZ_SP_S10_EEES1K_S1L_lEENS3_INS4_IJSU_SG_SG_NSB_INS4_IJiSC_NS7_IiLi64EEEEEELb0EEES1S_EEENS4_IJSJ_SL_SK_SZ_S10_EEENS4_IJSN_SZ_S10_NSI_IJLi5ELi6ELi7EEEENSI_IJLi8ELi9ELi10EEEEEEENSI_IJLi5ELi6ELi7ELi8ELi9ELi10EEEElEENS_31BlockToCTileMap_M00_N00_M01_N01ILi128ELi128ES12_Lb0EEELb0ELb0EEEvPKT0_S24_PT1_T2_T3_T4_T5_.num_agpr, 0
	.set _ZN2ck19kernel_gemm_dl_v1r3INS_28GridwiseGemmDl_km_kn_mn_v1r3ILi256EDF16_fDF16_LNS_25InMemoryDataOperationEnumE0ENS_16TensorDescriptorINS_5TupleIJNS_5EmbedINS4_IJiiEEENS4_IJNS_17integral_constantIiLi1EEEiEEELb0EEENS_7UnMergeINS4_IJiNS7_IiLi2EEEEEELb0EEENS_11PassThroughIiEEEEENS4_IJNS_8SequenceIJLi0EEEENSI_IJLi2EEEENSI_IJLi1EEEEEEENS4_IJNSI_IJLi1ELi2EEEENSI_IJLi3ELi4EEEENSI_IJLi5EEEEEEENSI_IJLi3ELi5ELi4EEEElEENS3_INS4_IJNS5_IS6_NS4_IJiS8_EEELb0EEESE_SG_EEENS4_IJSJ_SL_SK_EEESQ_SR_lEENS3_INS4_IJSU_SG_SG_EEESW_NS4_IJSN_NSI_IJLi3EEEENSI_IJLi4EEEEEEESO_lEELi128ELi128ELi16ELi2ELi4ELi4ELi1ENSI_IJLi8ELi2EEEES13_NSI_IJLi2ELi1ELi4ELi2EEEENSI_IJLi8ELi1ELi32ELi1EEEENSI_IJLi0ELi3ELi1ELi2EEEES16_NSI_IJLi1ELi1ELi4ELi1EEEES16_NSI_IJLi1ELi1ELi4ELi2EEEES14_S15_S16_S16_S17_S16_S18_NSI_IJLi0ELi1ELi2ELi3ELi4ELi5EEEELi5ELi4EEEDF16_DF16_NS3_INS4_IJSA_SE_SG_SG_NSB_INS4_IJiNS7_IiLi128EEEEEELb0EEENSF_ISC_EEEEENS4_IJSJ_SK_SL_SZ_SP_S10_EEENS4_IJSN_SO_SP_NSI_IJLi6EEEENSI_IJLi7ELi8EEEENSI_IJLi9EEEEEEENSI_IJLi6ELi7ELi8ELi9EEEElEENS3_INS4_IJSU_SE_SG_SG_S1D_S1E_EEENS4_IJSJ_SL_SK_SZ_SP_S10_EEES1K_S1L_lEENS3_INS4_IJSU_SG_SG_NSB_INS4_IJiSC_NS7_IiLi64EEEEEELb0EEES1S_EEENS4_IJSJ_SL_SK_SZ_S10_EEENS4_IJSN_SZ_S10_NSI_IJLi5ELi6ELi7EEEENSI_IJLi8ELi9ELi10EEEEEEENSI_IJLi5ELi6ELi7ELi8ELi9ELi10EEEElEENS_31BlockToCTileMap_M00_N00_M01_N01ILi128ELi128ES12_Lb0EEELb0ELb0EEEvPKT0_S24_PT1_T2_T3_T4_T5_.numbered_sgpr, 29
	.set _ZN2ck19kernel_gemm_dl_v1r3INS_28GridwiseGemmDl_km_kn_mn_v1r3ILi256EDF16_fDF16_LNS_25InMemoryDataOperationEnumE0ENS_16TensorDescriptorINS_5TupleIJNS_5EmbedINS4_IJiiEEENS4_IJNS_17integral_constantIiLi1EEEiEEELb0EEENS_7UnMergeINS4_IJiNS7_IiLi2EEEEEELb0EEENS_11PassThroughIiEEEEENS4_IJNS_8SequenceIJLi0EEEENSI_IJLi2EEEENSI_IJLi1EEEEEEENS4_IJNSI_IJLi1ELi2EEEENSI_IJLi3ELi4EEEENSI_IJLi5EEEEEEENSI_IJLi3ELi5ELi4EEEElEENS3_INS4_IJNS5_IS6_NS4_IJiS8_EEELb0EEESE_SG_EEENS4_IJSJ_SL_SK_EEESQ_SR_lEENS3_INS4_IJSU_SG_SG_EEESW_NS4_IJSN_NSI_IJLi3EEEENSI_IJLi4EEEEEEESO_lEELi128ELi128ELi16ELi2ELi4ELi4ELi1ENSI_IJLi8ELi2EEEES13_NSI_IJLi2ELi1ELi4ELi2EEEENSI_IJLi8ELi1ELi32ELi1EEEENSI_IJLi0ELi3ELi1ELi2EEEES16_NSI_IJLi1ELi1ELi4ELi1EEEES16_NSI_IJLi1ELi1ELi4ELi2EEEES14_S15_S16_S16_S17_S16_S18_NSI_IJLi0ELi1ELi2ELi3ELi4ELi5EEEELi5ELi4EEEDF16_DF16_NS3_INS4_IJSA_SE_SG_SG_NSB_INS4_IJiNS7_IiLi128EEEEEELb0EEENSF_ISC_EEEEENS4_IJSJ_SK_SL_SZ_SP_S10_EEENS4_IJSN_SO_SP_NSI_IJLi6EEEENSI_IJLi7ELi8EEEENSI_IJLi9EEEEEEENSI_IJLi6ELi7ELi8ELi9EEEElEENS3_INS4_IJSU_SE_SG_SG_S1D_S1E_EEENS4_IJSJ_SL_SK_SZ_SP_S10_EEES1K_S1L_lEENS3_INS4_IJSU_SG_SG_NSB_INS4_IJiSC_NS7_IiLi64EEEEEELb0EEES1S_EEENS4_IJSJ_SL_SK_SZ_S10_EEENS4_IJSN_SZ_S10_NSI_IJLi5ELi6ELi7EEEENSI_IJLi8ELi9ELi10EEEEEEENSI_IJLi5ELi6ELi7ELi8ELi9ELi10EEEElEENS_31BlockToCTileMap_M00_N00_M01_N01ILi128ELi128ES12_Lb0EEELb0ELb0EEEvPKT0_S24_PT1_T2_T3_T4_T5_.num_named_barrier, 0
	.set _ZN2ck19kernel_gemm_dl_v1r3INS_28GridwiseGemmDl_km_kn_mn_v1r3ILi256EDF16_fDF16_LNS_25InMemoryDataOperationEnumE0ENS_16TensorDescriptorINS_5TupleIJNS_5EmbedINS4_IJiiEEENS4_IJNS_17integral_constantIiLi1EEEiEEELb0EEENS_7UnMergeINS4_IJiNS7_IiLi2EEEEEELb0EEENS_11PassThroughIiEEEEENS4_IJNS_8SequenceIJLi0EEEENSI_IJLi2EEEENSI_IJLi1EEEEEEENS4_IJNSI_IJLi1ELi2EEEENSI_IJLi3ELi4EEEENSI_IJLi5EEEEEEENSI_IJLi3ELi5ELi4EEEElEENS3_INS4_IJNS5_IS6_NS4_IJiS8_EEELb0EEESE_SG_EEENS4_IJSJ_SL_SK_EEESQ_SR_lEENS3_INS4_IJSU_SG_SG_EEESW_NS4_IJSN_NSI_IJLi3EEEENSI_IJLi4EEEEEEESO_lEELi128ELi128ELi16ELi2ELi4ELi4ELi1ENSI_IJLi8ELi2EEEES13_NSI_IJLi2ELi1ELi4ELi2EEEENSI_IJLi8ELi1ELi32ELi1EEEENSI_IJLi0ELi3ELi1ELi2EEEES16_NSI_IJLi1ELi1ELi4ELi1EEEES16_NSI_IJLi1ELi1ELi4ELi2EEEES14_S15_S16_S16_S17_S16_S18_NSI_IJLi0ELi1ELi2ELi3ELi4ELi5EEEELi5ELi4EEEDF16_DF16_NS3_INS4_IJSA_SE_SG_SG_NSB_INS4_IJiNS7_IiLi128EEEEEELb0EEENSF_ISC_EEEEENS4_IJSJ_SK_SL_SZ_SP_S10_EEENS4_IJSN_SO_SP_NSI_IJLi6EEEENSI_IJLi7ELi8EEEENSI_IJLi9EEEEEEENSI_IJLi6ELi7ELi8ELi9EEEElEENS3_INS4_IJSU_SE_SG_SG_S1D_S1E_EEENS4_IJSJ_SL_SK_SZ_SP_S10_EEES1K_S1L_lEENS3_INS4_IJSU_SG_SG_NSB_INS4_IJiSC_NS7_IiLi64EEEEEELb0EEES1S_EEENS4_IJSJ_SL_SK_SZ_S10_EEENS4_IJSN_SZ_S10_NSI_IJLi5ELi6ELi7EEEENSI_IJLi8ELi9ELi10EEEEEEENSI_IJLi5ELi6ELi7ELi8ELi9ELi10EEEElEENS_31BlockToCTileMap_M00_N00_M01_N01ILi128ELi128ES12_Lb0EEELb0ELb0EEEvPKT0_S24_PT1_T2_T3_T4_T5_.private_seg_size, 0
	.set _ZN2ck19kernel_gemm_dl_v1r3INS_28GridwiseGemmDl_km_kn_mn_v1r3ILi256EDF16_fDF16_LNS_25InMemoryDataOperationEnumE0ENS_16TensorDescriptorINS_5TupleIJNS_5EmbedINS4_IJiiEEENS4_IJNS_17integral_constantIiLi1EEEiEEELb0EEENS_7UnMergeINS4_IJiNS7_IiLi2EEEEEELb0EEENS_11PassThroughIiEEEEENS4_IJNS_8SequenceIJLi0EEEENSI_IJLi2EEEENSI_IJLi1EEEEEEENS4_IJNSI_IJLi1ELi2EEEENSI_IJLi3ELi4EEEENSI_IJLi5EEEEEEENSI_IJLi3ELi5ELi4EEEElEENS3_INS4_IJNS5_IS6_NS4_IJiS8_EEELb0EEESE_SG_EEENS4_IJSJ_SL_SK_EEESQ_SR_lEENS3_INS4_IJSU_SG_SG_EEESW_NS4_IJSN_NSI_IJLi3EEEENSI_IJLi4EEEEEEESO_lEELi128ELi128ELi16ELi2ELi4ELi4ELi1ENSI_IJLi8ELi2EEEES13_NSI_IJLi2ELi1ELi4ELi2EEEENSI_IJLi8ELi1ELi32ELi1EEEENSI_IJLi0ELi3ELi1ELi2EEEES16_NSI_IJLi1ELi1ELi4ELi1EEEES16_NSI_IJLi1ELi1ELi4ELi2EEEES14_S15_S16_S16_S17_S16_S18_NSI_IJLi0ELi1ELi2ELi3ELi4ELi5EEEELi5ELi4EEEDF16_DF16_NS3_INS4_IJSA_SE_SG_SG_NSB_INS4_IJiNS7_IiLi128EEEEEELb0EEENSF_ISC_EEEEENS4_IJSJ_SK_SL_SZ_SP_S10_EEENS4_IJSN_SO_SP_NSI_IJLi6EEEENSI_IJLi7ELi8EEEENSI_IJLi9EEEEEEENSI_IJLi6ELi7ELi8ELi9EEEElEENS3_INS4_IJSU_SE_SG_SG_S1D_S1E_EEENS4_IJSJ_SL_SK_SZ_SP_S10_EEES1K_S1L_lEENS3_INS4_IJSU_SG_SG_NSB_INS4_IJiSC_NS7_IiLi64EEEEEELb0EEES1S_EEENS4_IJSJ_SL_SK_SZ_S10_EEENS4_IJSN_SZ_S10_NSI_IJLi5ELi6ELi7EEEENSI_IJLi8ELi9ELi10EEEEEEENSI_IJLi5ELi6ELi7ELi8ELi9ELi10EEEElEENS_31BlockToCTileMap_M00_N00_M01_N01ILi128ELi128ES12_Lb0EEELb0ELb0EEEvPKT0_S24_PT1_T2_T3_T4_T5_.uses_vcc, 0
	.set _ZN2ck19kernel_gemm_dl_v1r3INS_28GridwiseGemmDl_km_kn_mn_v1r3ILi256EDF16_fDF16_LNS_25InMemoryDataOperationEnumE0ENS_16TensorDescriptorINS_5TupleIJNS_5EmbedINS4_IJiiEEENS4_IJNS_17integral_constantIiLi1EEEiEEELb0EEENS_7UnMergeINS4_IJiNS7_IiLi2EEEEEELb0EEENS_11PassThroughIiEEEEENS4_IJNS_8SequenceIJLi0EEEENSI_IJLi2EEEENSI_IJLi1EEEEEEENS4_IJNSI_IJLi1ELi2EEEENSI_IJLi3ELi4EEEENSI_IJLi5EEEEEEENSI_IJLi3ELi5ELi4EEEElEENS3_INS4_IJNS5_IS6_NS4_IJiS8_EEELb0EEESE_SG_EEENS4_IJSJ_SL_SK_EEESQ_SR_lEENS3_INS4_IJSU_SG_SG_EEESW_NS4_IJSN_NSI_IJLi3EEEENSI_IJLi4EEEEEEESO_lEELi128ELi128ELi16ELi2ELi4ELi4ELi1ENSI_IJLi8ELi2EEEES13_NSI_IJLi2ELi1ELi4ELi2EEEENSI_IJLi8ELi1ELi32ELi1EEEENSI_IJLi0ELi3ELi1ELi2EEEES16_NSI_IJLi1ELi1ELi4ELi1EEEES16_NSI_IJLi1ELi1ELi4ELi2EEEES14_S15_S16_S16_S17_S16_S18_NSI_IJLi0ELi1ELi2ELi3ELi4ELi5EEEELi5ELi4EEEDF16_DF16_NS3_INS4_IJSA_SE_SG_SG_NSB_INS4_IJiNS7_IiLi128EEEEEELb0EEENSF_ISC_EEEEENS4_IJSJ_SK_SL_SZ_SP_S10_EEENS4_IJSN_SO_SP_NSI_IJLi6EEEENSI_IJLi7ELi8EEEENSI_IJLi9EEEEEEENSI_IJLi6ELi7ELi8ELi9EEEElEENS3_INS4_IJSU_SE_SG_SG_S1D_S1E_EEENS4_IJSJ_SL_SK_SZ_SP_S10_EEES1K_S1L_lEENS3_INS4_IJSU_SG_SG_NSB_INS4_IJiSC_NS7_IiLi64EEEEEELb0EEES1S_EEENS4_IJSJ_SL_SK_SZ_S10_EEENS4_IJSN_SZ_S10_NSI_IJLi5ELi6ELi7EEEENSI_IJLi8ELi9ELi10EEEEEEENSI_IJLi5ELi6ELi7ELi8ELi9ELi10EEEElEENS_31BlockToCTileMap_M00_N00_M01_N01ILi128ELi128ES12_Lb0EEELb0ELb0EEEvPKT0_S24_PT1_T2_T3_T4_T5_.uses_flat_scratch, 0
	.set _ZN2ck19kernel_gemm_dl_v1r3INS_28GridwiseGemmDl_km_kn_mn_v1r3ILi256EDF16_fDF16_LNS_25InMemoryDataOperationEnumE0ENS_16TensorDescriptorINS_5TupleIJNS_5EmbedINS4_IJiiEEENS4_IJNS_17integral_constantIiLi1EEEiEEELb0EEENS_7UnMergeINS4_IJiNS7_IiLi2EEEEEELb0EEENS_11PassThroughIiEEEEENS4_IJNS_8SequenceIJLi0EEEENSI_IJLi2EEEENSI_IJLi1EEEEEEENS4_IJNSI_IJLi1ELi2EEEENSI_IJLi3ELi4EEEENSI_IJLi5EEEEEEENSI_IJLi3ELi5ELi4EEEElEENS3_INS4_IJNS5_IS6_NS4_IJiS8_EEELb0EEESE_SG_EEENS4_IJSJ_SL_SK_EEESQ_SR_lEENS3_INS4_IJSU_SG_SG_EEESW_NS4_IJSN_NSI_IJLi3EEEENSI_IJLi4EEEEEEESO_lEELi128ELi128ELi16ELi2ELi4ELi4ELi1ENSI_IJLi8ELi2EEEES13_NSI_IJLi2ELi1ELi4ELi2EEEENSI_IJLi8ELi1ELi32ELi1EEEENSI_IJLi0ELi3ELi1ELi2EEEES16_NSI_IJLi1ELi1ELi4ELi1EEEES16_NSI_IJLi1ELi1ELi4ELi2EEEES14_S15_S16_S16_S17_S16_S18_NSI_IJLi0ELi1ELi2ELi3ELi4ELi5EEEELi5ELi4EEEDF16_DF16_NS3_INS4_IJSA_SE_SG_SG_NSB_INS4_IJiNS7_IiLi128EEEEEELb0EEENSF_ISC_EEEEENS4_IJSJ_SK_SL_SZ_SP_S10_EEENS4_IJSN_SO_SP_NSI_IJLi6EEEENSI_IJLi7ELi8EEEENSI_IJLi9EEEEEEENSI_IJLi6ELi7ELi8ELi9EEEElEENS3_INS4_IJSU_SE_SG_SG_S1D_S1E_EEENS4_IJSJ_SL_SK_SZ_SP_S10_EEES1K_S1L_lEENS3_INS4_IJSU_SG_SG_NSB_INS4_IJiSC_NS7_IiLi64EEEEEELb0EEES1S_EEENS4_IJSJ_SL_SK_SZ_S10_EEENS4_IJSN_SZ_S10_NSI_IJLi5ELi6ELi7EEEENSI_IJLi8ELi9ELi10EEEEEEENSI_IJLi5ELi6ELi7ELi8ELi9ELi10EEEElEENS_31BlockToCTileMap_M00_N00_M01_N01ILi128ELi128ES12_Lb0EEELb0ELb0EEEvPKT0_S24_PT1_T2_T3_T4_T5_.has_dyn_sized_stack, 0
	.set _ZN2ck19kernel_gemm_dl_v1r3INS_28GridwiseGemmDl_km_kn_mn_v1r3ILi256EDF16_fDF16_LNS_25InMemoryDataOperationEnumE0ENS_16TensorDescriptorINS_5TupleIJNS_5EmbedINS4_IJiiEEENS4_IJNS_17integral_constantIiLi1EEEiEEELb0EEENS_7UnMergeINS4_IJiNS7_IiLi2EEEEEELb0EEENS_11PassThroughIiEEEEENS4_IJNS_8SequenceIJLi0EEEENSI_IJLi2EEEENSI_IJLi1EEEEEEENS4_IJNSI_IJLi1ELi2EEEENSI_IJLi3ELi4EEEENSI_IJLi5EEEEEEENSI_IJLi3ELi5ELi4EEEElEENS3_INS4_IJNS5_IS6_NS4_IJiS8_EEELb0EEESE_SG_EEENS4_IJSJ_SL_SK_EEESQ_SR_lEENS3_INS4_IJSU_SG_SG_EEESW_NS4_IJSN_NSI_IJLi3EEEENSI_IJLi4EEEEEEESO_lEELi128ELi128ELi16ELi2ELi4ELi4ELi1ENSI_IJLi8ELi2EEEES13_NSI_IJLi2ELi1ELi4ELi2EEEENSI_IJLi8ELi1ELi32ELi1EEEENSI_IJLi0ELi3ELi1ELi2EEEES16_NSI_IJLi1ELi1ELi4ELi1EEEES16_NSI_IJLi1ELi1ELi4ELi2EEEES14_S15_S16_S16_S17_S16_S18_NSI_IJLi0ELi1ELi2ELi3ELi4ELi5EEEELi5ELi4EEEDF16_DF16_NS3_INS4_IJSA_SE_SG_SG_NSB_INS4_IJiNS7_IiLi128EEEEEELb0EEENSF_ISC_EEEEENS4_IJSJ_SK_SL_SZ_SP_S10_EEENS4_IJSN_SO_SP_NSI_IJLi6EEEENSI_IJLi7ELi8EEEENSI_IJLi9EEEEEEENSI_IJLi6ELi7ELi8ELi9EEEElEENS3_INS4_IJSU_SE_SG_SG_S1D_S1E_EEENS4_IJSJ_SL_SK_SZ_SP_S10_EEES1K_S1L_lEENS3_INS4_IJSU_SG_SG_NSB_INS4_IJiSC_NS7_IiLi64EEEEEELb0EEES1S_EEENS4_IJSJ_SL_SK_SZ_S10_EEENS4_IJSN_SZ_S10_NSI_IJLi5ELi6ELi7EEEENSI_IJLi8ELi9ELi10EEEEEEENSI_IJLi5ELi6ELi7ELi8ELi9ELi10EEEElEENS_31BlockToCTileMap_M00_N00_M01_N01ILi128ELi128ES12_Lb0EEELb0ELb0EEEvPKT0_S24_PT1_T2_T3_T4_T5_.has_recursion, 0
	.set _ZN2ck19kernel_gemm_dl_v1r3INS_28GridwiseGemmDl_km_kn_mn_v1r3ILi256EDF16_fDF16_LNS_25InMemoryDataOperationEnumE0ENS_16TensorDescriptorINS_5TupleIJNS_5EmbedINS4_IJiiEEENS4_IJNS_17integral_constantIiLi1EEEiEEELb0EEENS_7UnMergeINS4_IJiNS7_IiLi2EEEEEELb0EEENS_11PassThroughIiEEEEENS4_IJNS_8SequenceIJLi0EEEENSI_IJLi2EEEENSI_IJLi1EEEEEEENS4_IJNSI_IJLi1ELi2EEEENSI_IJLi3ELi4EEEENSI_IJLi5EEEEEEENSI_IJLi3ELi5ELi4EEEElEENS3_INS4_IJNS5_IS6_NS4_IJiS8_EEELb0EEESE_SG_EEENS4_IJSJ_SL_SK_EEESQ_SR_lEENS3_INS4_IJSU_SG_SG_EEESW_NS4_IJSN_NSI_IJLi3EEEENSI_IJLi4EEEEEEESO_lEELi128ELi128ELi16ELi2ELi4ELi4ELi1ENSI_IJLi8ELi2EEEES13_NSI_IJLi2ELi1ELi4ELi2EEEENSI_IJLi8ELi1ELi32ELi1EEEENSI_IJLi0ELi3ELi1ELi2EEEES16_NSI_IJLi1ELi1ELi4ELi1EEEES16_NSI_IJLi1ELi1ELi4ELi2EEEES14_S15_S16_S16_S17_S16_S18_NSI_IJLi0ELi1ELi2ELi3ELi4ELi5EEEELi5ELi4EEEDF16_DF16_NS3_INS4_IJSA_SE_SG_SG_NSB_INS4_IJiNS7_IiLi128EEEEEELb0EEENSF_ISC_EEEEENS4_IJSJ_SK_SL_SZ_SP_S10_EEENS4_IJSN_SO_SP_NSI_IJLi6EEEENSI_IJLi7ELi8EEEENSI_IJLi9EEEEEEENSI_IJLi6ELi7ELi8ELi9EEEElEENS3_INS4_IJSU_SE_SG_SG_S1D_S1E_EEENS4_IJSJ_SL_SK_SZ_SP_S10_EEES1K_S1L_lEENS3_INS4_IJSU_SG_SG_NSB_INS4_IJiSC_NS7_IiLi64EEEEEELb0EEES1S_EEENS4_IJSJ_SL_SK_SZ_S10_EEENS4_IJSN_SZ_S10_NSI_IJLi5ELi6ELi7EEEENSI_IJLi8ELi9ELi10EEEEEEENSI_IJLi5ELi6ELi7ELi8ELi9ELi10EEEElEENS_31BlockToCTileMap_M00_N00_M01_N01ILi128ELi128ES12_Lb0EEELb0ELb0EEEvPKT0_S24_PT1_T2_T3_T4_T5_.has_indirect_call, 0
	.section	.AMDGPU.csdata,"",@progbits
; Kernel info:
; codeLenInByte = 10404
; TotalNumSgprs: 33
; NumVgprs: 84
; ScratchSize: 0
; MemoryBound: 0
; FloatMode: 240
; IeeeMode: 1
; LDSByteSize: 32768 bytes/workgroup (compile time only)
; SGPRBlocks: 12
; VGPRBlocks: 21
; NumSGPRsForWavesPerEU: 102
; NumVGPRsForWavesPerEU: 85
; Occupancy: 2
; WaveLimiterHint : 0
; COMPUTE_PGM_RSRC2:SCRATCH_EN: 0
; COMPUTE_PGM_RSRC2:USER_SGPR: 6
; COMPUTE_PGM_RSRC2:TRAP_HANDLER: 0
; COMPUTE_PGM_RSRC2:TGID_X_EN: 1
; COMPUTE_PGM_RSRC2:TGID_Y_EN: 0
; COMPUTE_PGM_RSRC2:TGID_Z_EN: 0
; COMPUTE_PGM_RSRC2:TIDIG_COMP_CNT: 0
	.section	.text._ZN2ck17naive_gemm_kernelINS_13tensor_layout4gemm11ColumnMajorENS2_8RowMajorES4_DF16_DF16_DF16_fNS_16tensor_operation12element_wise11PassThroughES7_S7_DF16_DF16_EEvPKT2_PKT3_PT4_iiiT6_T7_T8_,"axG",@progbits,_ZN2ck17naive_gemm_kernelINS_13tensor_layout4gemm11ColumnMajorENS2_8RowMajorES4_DF16_DF16_DF16_fNS_16tensor_operation12element_wise11PassThroughES7_S7_DF16_DF16_EEvPKT2_PKT3_PT4_iiiT6_T7_T8_,comdat
	.protected	_ZN2ck17naive_gemm_kernelINS_13tensor_layout4gemm11ColumnMajorENS2_8RowMajorES4_DF16_DF16_DF16_fNS_16tensor_operation12element_wise11PassThroughES7_S7_DF16_DF16_EEvPKT2_PKT3_PT4_iiiT6_T7_T8_ ; -- Begin function _ZN2ck17naive_gemm_kernelINS_13tensor_layout4gemm11ColumnMajorENS2_8RowMajorES4_DF16_DF16_DF16_fNS_16tensor_operation12element_wise11PassThroughES7_S7_DF16_DF16_EEvPKT2_PKT3_PT4_iiiT6_T7_T8_
	.globl	_ZN2ck17naive_gemm_kernelINS_13tensor_layout4gemm11ColumnMajorENS2_8RowMajorES4_DF16_DF16_DF16_fNS_16tensor_operation12element_wise11PassThroughES7_S7_DF16_DF16_EEvPKT2_PKT3_PT4_iiiT6_T7_T8_
	.p2align	8
	.type	_ZN2ck17naive_gemm_kernelINS_13tensor_layout4gemm11ColumnMajorENS2_8RowMajorES4_DF16_DF16_DF16_fNS_16tensor_operation12element_wise11PassThroughES7_S7_DF16_DF16_EEvPKT2_PKT3_PT4_iiiT6_T7_T8_,@function
_ZN2ck17naive_gemm_kernelINS_13tensor_layout4gemm11ColumnMajorENS2_8RowMajorES4_DF16_DF16_DF16_fNS_16tensor_operation12element_wise11PassThroughES7_S7_DF16_DF16_EEvPKT2_PKT3_PT4_iiiT6_T7_T8_: ; @_ZN2ck17naive_gemm_kernelINS_13tensor_layout4gemm11ColumnMajorENS2_8RowMajorES4_DF16_DF16_DF16_fNS_16tensor_operation12element_wise11PassThroughES7_S7_DF16_DF16_EEvPKT2_PKT3_PT4_iiiT6_T7_T8_
; %bb.0:
	s_load_dword s0, s[4:5], 0x34
	s_load_dwordx4 s[8:11], s[4:5], 0x18
	s_waitcnt lgkmcnt(0)
	s_lshr_b32 s1, s0, 16
	s_and_b32 s0, s0, 0xffff
	s_mul_i32 s6, s6, s0
	s_mul_i32 s7, s7, s1
	v_add_u32_e32 v5, s6, v0
	v_add_u32_e32 v0, s7, v1
	v_cmp_gt_i32_e32 vcc, s8, v5
	v_cmp_gt_i32_e64 s[0:1], s9, v0
	s_and_b64 s[0:1], vcc, s[0:1]
	s_and_saveexec_b64 s[2:3], s[0:1]
	s_cbranch_execz .LBB5_7
; %bb.1:
	s_load_dwordx2 s[6:7], s[4:5], 0x10
	s_cmp_lt_i32 s10, 1
	s_cbranch_scc1 .LBB5_5
; %bb.2:
	s_load_dwordx4 s[0:3], s[4:5], 0x0
	v_mov_b32_e32 v6, 0
	v_mov_b32_e32 v1, v5
	;; [unrolled: 1-line block ×3, first 2 shown]
	s_waitcnt lgkmcnt(0)
	v_mov_b32_e32 v7, s1
	v_mov_b32_e32 v8, s3
.LBB5_3:                                ; =>This Inner Loop Header: Depth=1
	v_ashrrev_i32_e32 v2, 31, v1
	v_lshlrev_b64 v[9:10], 1, v[1:2]
	v_ashrrev_i32_e32 v4, 31, v3
	v_add_co_u32_e32 v9, vcc, s0, v9
	v_addc_co_u32_e32 v10, vcc, v7, v10, vcc
	global_load_ushort v2, v[9:10], off
	v_lshlrev_b64 v[9:10], 1, v[3:4]
	s_add_i32 s10, s10, -1
	v_add_co_u32_e32 v9, vcc, s2, v9
	v_addc_co_u32_e32 v10, vcc, v8, v10, vcc
	global_load_ushort v4, v[9:10], off
	v_add_u32_e32 v3, s9, v3
	s_cmp_eq_u32 s10, 0
	v_add_u32_e32 v1, s8, v1
	s_waitcnt vmcnt(0)
	v_fma_mix_f32 v6, v2, v4, v6 op_sel_hi:[1,1,0]
	s_cbranch_scc0 .LBB5_3
; %bb.4:
	v_cvt_f16_f32_e32 v1, v6
	s_branch .LBB5_6
.LBB5_5:
	v_mov_b32_e32 v1, 0
.LBB5_6:
	v_mad_u64_u32 v[2:3], s[0:1], v5, s9, v[0:1]
	s_waitcnt lgkmcnt(0)
	v_mov_b32_e32 v0, s7
	v_ashrrev_i32_e32 v3, 31, v2
	v_lshlrev_b64 v[2:3], 1, v[2:3]
	v_add_co_u32_e32 v2, vcc, s6, v2
	v_addc_co_u32_e32 v3, vcc, v0, v3, vcc
	global_store_short v[2:3], v1, off
.LBB5_7:
	s_endpgm
	.section	.rodata,"a",@progbits
	.p2align	6, 0x0
	.amdhsa_kernel _ZN2ck17naive_gemm_kernelINS_13tensor_layout4gemm11ColumnMajorENS2_8RowMajorES4_DF16_DF16_DF16_fNS_16tensor_operation12element_wise11PassThroughES7_S7_DF16_DF16_EEvPKT2_PKT3_PT4_iiiT6_T7_T8_
		.amdhsa_group_segment_fixed_size 0
		.amdhsa_private_segment_fixed_size 0
		.amdhsa_kernarg_size 296
		.amdhsa_user_sgpr_count 6
		.amdhsa_user_sgpr_private_segment_buffer 1
		.amdhsa_user_sgpr_dispatch_ptr 0
		.amdhsa_user_sgpr_queue_ptr 0
		.amdhsa_user_sgpr_kernarg_segment_ptr 1
		.amdhsa_user_sgpr_dispatch_id 0
		.amdhsa_user_sgpr_flat_scratch_init 0
		.amdhsa_user_sgpr_private_segment_size 0
		.amdhsa_uses_dynamic_stack 0
		.amdhsa_system_sgpr_private_segment_wavefront_offset 0
		.amdhsa_system_sgpr_workgroup_id_x 1
		.amdhsa_system_sgpr_workgroup_id_y 1
		.amdhsa_system_sgpr_workgroup_id_z 0
		.amdhsa_system_sgpr_workgroup_info 0
		.amdhsa_system_vgpr_workitem_id 1
		.amdhsa_next_free_vgpr 11
		.amdhsa_next_free_sgpr 12
		.amdhsa_reserve_vcc 1
		.amdhsa_reserve_flat_scratch 0
		.amdhsa_float_round_mode_32 0
		.amdhsa_float_round_mode_16_64 0
		.amdhsa_float_denorm_mode_32 3
		.amdhsa_float_denorm_mode_16_64 3
		.amdhsa_dx10_clamp 1
		.amdhsa_ieee_mode 1
		.amdhsa_fp16_overflow 0
		.amdhsa_exception_fp_ieee_invalid_op 0
		.amdhsa_exception_fp_denorm_src 0
		.amdhsa_exception_fp_ieee_div_zero 0
		.amdhsa_exception_fp_ieee_overflow 0
		.amdhsa_exception_fp_ieee_underflow 0
		.amdhsa_exception_fp_ieee_inexact 0
		.amdhsa_exception_int_div_zero 0
	.end_amdhsa_kernel
	.section	.text._ZN2ck17naive_gemm_kernelINS_13tensor_layout4gemm11ColumnMajorENS2_8RowMajorES4_DF16_DF16_DF16_fNS_16tensor_operation12element_wise11PassThroughES7_S7_DF16_DF16_EEvPKT2_PKT3_PT4_iiiT6_T7_T8_,"axG",@progbits,_ZN2ck17naive_gemm_kernelINS_13tensor_layout4gemm11ColumnMajorENS2_8RowMajorES4_DF16_DF16_DF16_fNS_16tensor_operation12element_wise11PassThroughES7_S7_DF16_DF16_EEvPKT2_PKT3_PT4_iiiT6_T7_T8_,comdat
.Lfunc_end5:
	.size	_ZN2ck17naive_gemm_kernelINS_13tensor_layout4gemm11ColumnMajorENS2_8RowMajorES4_DF16_DF16_DF16_fNS_16tensor_operation12element_wise11PassThroughES7_S7_DF16_DF16_EEvPKT2_PKT3_PT4_iiiT6_T7_T8_, .Lfunc_end5-_ZN2ck17naive_gemm_kernelINS_13tensor_layout4gemm11ColumnMajorENS2_8RowMajorES4_DF16_DF16_DF16_fNS_16tensor_operation12element_wise11PassThroughES7_S7_DF16_DF16_EEvPKT2_PKT3_PT4_iiiT6_T7_T8_
                                        ; -- End function
	.set _ZN2ck17naive_gemm_kernelINS_13tensor_layout4gemm11ColumnMajorENS2_8RowMajorES4_DF16_DF16_DF16_fNS_16tensor_operation12element_wise11PassThroughES7_S7_DF16_DF16_EEvPKT2_PKT3_PT4_iiiT6_T7_T8_.num_vgpr, 11
	.set _ZN2ck17naive_gemm_kernelINS_13tensor_layout4gemm11ColumnMajorENS2_8RowMajorES4_DF16_DF16_DF16_fNS_16tensor_operation12element_wise11PassThroughES7_S7_DF16_DF16_EEvPKT2_PKT3_PT4_iiiT6_T7_T8_.num_agpr, 0
	.set _ZN2ck17naive_gemm_kernelINS_13tensor_layout4gemm11ColumnMajorENS2_8RowMajorES4_DF16_DF16_DF16_fNS_16tensor_operation12element_wise11PassThroughES7_S7_DF16_DF16_EEvPKT2_PKT3_PT4_iiiT6_T7_T8_.numbered_sgpr, 12
	.set _ZN2ck17naive_gemm_kernelINS_13tensor_layout4gemm11ColumnMajorENS2_8RowMajorES4_DF16_DF16_DF16_fNS_16tensor_operation12element_wise11PassThroughES7_S7_DF16_DF16_EEvPKT2_PKT3_PT4_iiiT6_T7_T8_.num_named_barrier, 0
	.set _ZN2ck17naive_gemm_kernelINS_13tensor_layout4gemm11ColumnMajorENS2_8RowMajorES4_DF16_DF16_DF16_fNS_16tensor_operation12element_wise11PassThroughES7_S7_DF16_DF16_EEvPKT2_PKT3_PT4_iiiT6_T7_T8_.private_seg_size, 0
	.set _ZN2ck17naive_gemm_kernelINS_13tensor_layout4gemm11ColumnMajorENS2_8RowMajorES4_DF16_DF16_DF16_fNS_16tensor_operation12element_wise11PassThroughES7_S7_DF16_DF16_EEvPKT2_PKT3_PT4_iiiT6_T7_T8_.uses_vcc, 1
	.set _ZN2ck17naive_gemm_kernelINS_13tensor_layout4gemm11ColumnMajorENS2_8RowMajorES4_DF16_DF16_DF16_fNS_16tensor_operation12element_wise11PassThroughES7_S7_DF16_DF16_EEvPKT2_PKT3_PT4_iiiT6_T7_T8_.uses_flat_scratch, 0
	.set _ZN2ck17naive_gemm_kernelINS_13tensor_layout4gemm11ColumnMajorENS2_8RowMajorES4_DF16_DF16_DF16_fNS_16tensor_operation12element_wise11PassThroughES7_S7_DF16_DF16_EEvPKT2_PKT3_PT4_iiiT6_T7_T8_.has_dyn_sized_stack, 0
	.set _ZN2ck17naive_gemm_kernelINS_13tensor_layout4gemm11ColumnMajorENS2_8RowMajorES4_DF16_DF16_DF16_fNS_16tensor_operation12element_wise11PassThroughES7_S7_DF16_DF16_EEvPKT2_PKT3_PT4_iiiT6_T7_T8_.has_recursion, 0
	.set _ZN2ck17naive_gemm_kernelINS_13tensor_layout4gemm11ColumnMajorENS2_8RowMajorES4_DF16_DF16_DF16_fNS_16tensor_operation12element_wise11PassThroughES7_S7_DF16_DF16_EEvPKT2_PKT3_PT4_iiiT6_T7_T8_.has_indirect_call, 0
	.section	.AMDGPU.csdata,"",@progbits
; Kernel info:
; codeLenInByte = 268
; TotalNumSgprs: 16
; NumVgprs: 11
; ScratchSize: 0
; MemoryBound: 0
; FloatMode: 240
; IeeeMode: 1
; LDSByteSize: 0 bytes/workgroup (compile time only)
; SGPRBlocks: 1
; VGPRBlocks: 2
; NumSGPRsForWavesPerEU: 16
; NumVGPRsForWavesPerEU: 11
; Occupancy: 10
; WaveLimiterHint : 0
; COMPUTE_PGM_RSRC2:SCRATCH_EN: 0
; COMPUTE_PGM_RSRC2:USER_SGPR: 6
; COMPUTE_PGM_RSRC2:TRAP_HANDLER: 0
; COMPUTE_PGM_RSRC2:TGID_X_EN: 1
; COMPUTE_PGM_RSRC2:TGID_Y_EN: 1
; COMPUTE_PGM_RSRC2:TGID_Z_EN: 0
; COMPUTE_PGM_RSRC2:TIDIG_COMP_CNT: 1
	.section	.AMDGPU.gpr_maximums,"",@progbits
	.set amdgpu.max_num_vgpr, 0
	.set amdgpu.max_num_agpr, 0
	.set amdgpu.max_num_sgpr, 0
	.section	.AMDGPU.csdata,"",@progbits
	.type	__hip_cuid_d03f9b4fe5d527dd,@object ; @__hip_cuid_d03f9b4fe5d527dd
	.section	.bss,"aw",@nobits
	.globl	__hip_cuid_d03f9b4fe5d527dd
__hip_cuid_d03f9b4fe5d527dd:
	.byte	0                               ; 0x0
	.size	__hip_cuid_d03f9b4fe5d527dd, 1

	.ident	"AMD clang version 22.0.0git (https://github.com/RadeonOpenCompute/llvm-project roc-7.2.4 26084 f58b06dce1f9c15707c5f808fd002e18c2accf7e)"
	.section	".note.GNU-stack","",@progbits
	.addrsig
	.addrsig_sym __hip_cuid_d03f9b4fe5d527dd
	.amdgpu_metadata
---
amdhsa.kernels:
  - .args:           []
    .group_segment_fixed_size: 0
    .kernarg_segment_align: 4
    .kernarg_segment_size: 0
    .language:       OpenCL C
    .language_version:
      - 2
      - 0
    .max_flat_workgroup_size: 1024
    .name:           _ZN2ckL12flush_icacheEv
    .private_segment_fixed_size: 0
    .sgpr_count:     4
    .sgpr_spill_count: 0
    .symbol:         _ZN2ckL12flush_icacheEv.kd
    .uniform_work_group_size: 1
    .uses_dynamic_stack: false
    .vgpr_count:     0
    .vgpr_spill_count: 0
    .wavefront_size: 64
  - .args:
      - .actual_access:  read_only
        .address_space:  global
        .offset:         0
        .size:           8
        .value_kind:     global_buffer
      - .actual_access:  read_only
        .address_space:  global
        .offset:         8
        .size:           8
        .value_kind:     global_buffer
      - .actual_access:  write_only
        .address_space:  global
        .offset:         16
        .size:           8
        .value_kind:     global_buffer
      - .offset:         24
        .size:           64
        .value_kind:     by_value
      - .offset:         88
        .size:           64
        .value_kind:     by_value
      - .offset:         152
        .size:           64
        .value_kind:     by_value
      - .offset:         216
        .size:           112
        .value_kind:     by_value
    .group_segment_fixed_size: 32768
    .kernarg_segment_align: 8
    .kernarg_segment_size: 328
    .language:       OpenCL C
    .language_version:
      - 2
      - 0
    .max_flat_workgroup_size: 256
    .name:           _ZN2ck19kernel_gemm_dl_v1r3INS_28GridwiseGemmDl_km_kn_mn_v1r3ILi256EDF16_fDF16_LNS_25InMemoryDataOperationEnumE0ENS_16TensorDescriptorINS_5TupleIJNS_5EmbedINS4_IJiiEEENS4_IJNS_17integral_constantIiLi1EEEiEEELb0EEENS_7UnMergeINS4_IJiNS7_IiLi2EEEEEELb0EEENS_11PassThroughIiEEEEENS4_IJNS_8SequenceIJLi0EEEENSI_IJLi2EEEENSI_IJLi1EEEEEEENS4_IJNSI_IJLi1ELi2EEEENSI_IJLi3ELi4EEEENSI_IJLi5EEEEEEENSI_IJLi3ELi5ELi4EEEElEENS3_INS4_IJNS5_IS6_NS4_IJiS8_EEELb0EEESE_SG_EEENS4_IJSJ_SL_SK_EEESQ_SR_lEENS3_INS4_IJSU_SG_SG_EEESW_NS4_IJSN_NSI_IJLi3EEEENSI_IJLi4EEEEEEESO_lEELi128ELi128ELi16ELi2ELi4ELi4ELi1ENSI_IJLi8ELi2EEEES13_NSI_IJLi2ELi1ELi4ELi2EEEENSI_IJLi8ELi1ELi32ELi1EEEENSI_IJLi0ELi3ELi1ELi2EEEES16_NSI_IJLi1ELi1ELi4ELi1EEEES16_NSI_IJLi1ELi1ELi4ELi2EEEES14_S15_S16_S16_S17_S16_S18_NSI_IJLi0ELi1ELi2ELi3ELi4ELi5EEEELi5ELi4EEEDF16_DF16_NS3_INS4_IJSA_SE_SG_SG_NSB_INS4_IJiNS7_IiLi128EEEEEELb0EEENSF_ISC_EEEEENS4_IJSJ_SK_SL_SZ_SP_S10_EEENS4_IJSN_SO_SP_NSI_IJLi6EEEENSI_IJLi7ELi8EEEENSI_IJLi9EEEEEEENSI_IJLi6ELi7ELi8ELi9EEEElEENS3_INS4_IJSU_SE_SG_SG_S1D_S1E_EEENS4_IJSJ_SL_SK_SZ_SP_S10_EEES1K_S1L_lEENS3_INS4_IJSU_SG_SG_NSB_INS4_IJiSC_NS7_IiLi64EEEEEELb0EEES1S_EEENS4_IJSJ_SL_SK_SZ_S10_EEENS4_IJSN_SZ_S10_NSI_IJLi5ELi6ELi7EEEENSI_IJLi8ELi9ELi10EEEEEEENSI_IJLi5ELi6ELi7ELi8ELi9ELi10EEEElEENS_31BlockToCTileMap_M00_N00_M01_N01ILi128ELi128ES12_Lb0EEELb1ELb1EEEvPKT0_S24_PT1_T2_T3_T4_T5_
    .private_segment_fixed_size: 64
    .sgpr_count:     52
    .sgpr_spill_count: 0
    .symbol:         _ZN2ck19kernel_gemm_dl_v1r3INS_28GridwiseGemmDl_km_kn_mn_v1r3ILi256EDF16_fDF16_LNS_25InMemoryDataOperationEnumE0ENS_16TensorDescriptorINS_5TupleIJNS_5EmbedINS4_IJiiEEENS4_IJNS_17integral_constantIiLi1EEEiEEELb0EEENS_7UnMergeINS4_IJiNS7_IiLi2EEEEEELb0EEENS_11PassThroughIiEEEEENS4_IJNS_8SequenceIJLi0EEEENSI_IJLi2EEEENSI_IJLi1EEEEEEENS4_IJNSI_IJLi1ELi2EEEENSI_IJLi3ELi4EEEENSI_IJLi5EEEEEEENSI_IJLi3ELi5ELi4EEEElEENS3_INS4_IJNS5_IS6_NS4_IJiS8_EEELb0EEESE_SG_EEENS4_IJSJ_SL_SK_EEESQ_SR_lEENS3_INS4_IJSU_SG_SG_EEESW_NS4_IJSN_NSI_IJLi3EEEENSI_IJLi4EEEEEEESO_lEELi128ELi128ELi16ELi2ELi4ELi4ELi1ENSI_IJLi8ELi2EEEES13_NSI_IJLi2ELi1ELi4ELi2EEEENSI_IJLi8ELi1ELi32ELi1EEEENSI_IJLi0ELi3ELi1ELi2EEEES16_NSI_IJLi1ELi1ELi4ELi1EEEES16_NSI_IJLi1ELi1ELi4ELi2EEEES14_S15_S16_S16_S17_S16_S18_NSI_IJLi0ELi1ELi2ELi3ELi4ELi5EEEELi5ELi4EEEDF16_DF16_NS3_INS4_IJSA_SE_SG_SG_NSB_INS4_IJiNS7_IiLi128EEEEEELb0EEENSF_ISC_EEEEENS4_IJSJ_SK_SL_SZ_SP_S10_EEENS4_IJSN_SO_SP_NSI_IJLi6EEEENSI_IJLi7ELi8EEEENSI_IJLi9EEEEEEENSI_IJLi6ELi7ELi8ELi9EEEElEENS3_INS4_IJSU_SE_SG_SG_S1D_S1E_EEENS4_IJSJ_SL_SK_SZ_SP_S10_EEES1K_S1L_lEENS3_INS4_IJSU_SG_SG_NSB_INS4_IJiSC_NS7_IiLi64EEEEEELb0EEES1S_EEENS4_IJSJ_SL_SK_SZ_S10_EEENS4_IJSN_SZ_S10_NSI_IJLi5ELi6ELi7EEEENSI_IJLi8ELi9ELi10EEEEEEENSI_IJLi5ELi6ELi7ELi8ELi9ELi10EEEElEENS_31BlockToCTileMap_M00_N00_M01_N01ILi128ELi128ES12_Lb0EEELb1ELb1EEEvPKT0_S24_PT1_T2_T3_T4_T5_.kd
    .uniform_work_group_size: 1
    .uses_dynamic_stack: false
    .vgpr_count:     128
    .vgpr_spill_count: 15
    .wavefront_size: 64
  - .args:
      - .actual_access:  read_only
        .address_space:  global
        .offset:         0
        .size:           8
        .value_kind:     global_buffer
      - .actual_access:  read_only
        .address_space:  global
        .offset:         8
        .size:           8
        .value_kind:     global_buffer
      - .actual_access:  write_only
        .address_space:  global
        .offset:         16
        .size:           8
        .value_kind:     global_buffer
      - .offset:         24
        .size:           64
        .value_kind:     by_value
      - .offset:         88
        .size:           64
        .value_kind:     by_value
      - .offset:         152
        .size:           64
        .value_kind:     by_value
      - .offset:         216
        .size:           112
        .value_kind:     by_value
    .group_segment_fixed_size: 32768
    .kernarg_segment_align: 8
    .kernarg_segment_size: 328
    .language:       OpenCL C
    .language_version:
      - 2
      - 0
    .max_flat_workgroup_size: 256
    .name:           _ZN2ck19kernel_gemm_dl_v1r3INS_28GridwiseGemmDl_km_kn_mn_v1r3ILi256EDF16_fDF16_LNS_25InMemoryDataOperationEnumE0ENS_16TensorDescriptorINS_5TupleIJNS_5EmbedINS4_IJiiEEENS4_IJNS_17integral_constantIiLi1EEEiEEELb0EEENS_7UnMergeINS4_IJiNS7_IiLi2EEEEEELb0EEENS_11PassThroughIiEEEEENS4_IJNS_8SequenceIJLi0EEEENSI_IJLi2EEEENSI_IJLi1EEEEEEENS4_IJNSI_IJLi1ELi2EEEENSI_IJLi3ELi4EEEENSI_IJLi5EEEEEEENSI_IJLi3ELi5ELi4EEEElEENS3_INS4_IJNS5_IS6_NS4_IJiS8_EEELb0EEESE_SG_EEENS4_IJSJ_SL_SK_EEESQ_SR_lEENS3_INS4_IJSU_SG_SG_EEESW_NS4_IJSN_NSI_IJLi3EEEENSI_IJLi4EEEEEEESO_lEELi128ELi128ELi16ELi2ELi4ELi4ELi1ENSI_IJLi8ELi2EEEES13_NSI_IJLi2ELi1ELi4ELi2EEEENSI_IJLi8ELi1ELi32ELi1EEEENSI_IJLi0ELi3ELi1ELi2EEEES16_NSI_IJLi1ELi1ELi4ELi1EEEES16_NSI_IJLi1ELi1ELi4ELi2EEEES14_S15_S16_S16_S17_S16_S18_NSI_IJLi0ELi1ELi2ELi3ELi4ELi5EEEELi5ELi4EEEDF16_DF16_NS3_INS4_IJSA_SE_SG_SG_NSB_INS4_IJiNS7_IiLi128EEEEEELb0EEENSF_ISC_EEEEENS4_IJSJ_SK_SL_SZ_SP_S10_EEENS4_IJSN_SO_SP_NSI_IJLi6EEEENSI_IJLi7ELi8EEEENSI_IJLi9EEEEEEENSI_IJLi6ELi7ELi8ELi9EEEElEENS3_INS4_IJSU_SE_SG_SG_S1D_S1E_EEENS4_IJSJ_SL_SK_SZ_SP_S10_EEES1K_S1L_lEENS3_INS4_IJSU_SG_SG_NSB_INS4_IJiSC_NS7_IiLi64EEEEEELb0EEES1S_EEENS4_IJSJ_SL_SK_SZ_S10_EEENS4_IJSN_SZ_S10_NSI_IJLi5ELi6ELi7EEEENSI_IJLi8ELi9ELi10EEEEEEENSI_IJLi5ELi6ELi7ELi8ELi9ELi10EEEElEENS_31BlockToCTileMap_M00_N00_M01_N01ILi128ELi128ES12_Lb0EEELb1ELb0EEEvPKT0_S24_PT1_T2_T3_T4_T5_
    .private_segment_fixed_size: 40
    .sgpr_count:     48
    .sgpr_spill_count: 0
    .symbol:         _ZN2ck19kernel_gemm_dl_v1r3INS_28GridwiseGemmDl_km_kn_mn_v1r3ILi256EDF16_fDF16_LNS_25InMemoryDataOperationEnumE0ENS_16TensorDescriptorINS_5TupleIJNS_5EmbedINS4_IJiiEEENS4_IJNS_17integral_constantIiLi1EEEiEEELb0EEENS_7UnMergeINS4_IJiNS7_IiLi2EEEEEELb0EEENS_11PassThroughIiEEEEENS4_IJNS_8SequenceIJLi0EEEENSI_IJLi2EEEENSI_IJLi1EEEEEEENS4_IJNSI_IJLi1ELi2EEEENSI_IJLi3ELi4EEEENSI_IJLi5EEEEEEENSI_IJLi3ELi5ELi4EEEElEENS3_INS4_IJNS5_IS6_NS4_IJiS8_EEELb0EEESE_SG_EEENS4_IJSJ_SL_SK_EEESQ_SR_lEENS3_INS4_IJSU_SG_SG_EEESW_NS4_IJSN_NSI_IJLi3EEEENSI_IJLi4EEEEEEESO_lEELi128ELi128ELi16ELi2ELi4ELi4ELi1ENSI_IJLi8ELi2EEEES13_NSI_IJLi2ELi1ELi4ELi2EEEENSI_IJLi8ELi1ELi32ELi1EEEENSI_IJLi0ELi3ELi1ELi2EEEES16_NSI_IJLi1ELi1ELi4ELi1EEEES16_NSI_IJLi1ELi1ELi4ELi2EEEES14_S15_S16_S16_S17_S16_S18_NSI_IJLi0ELi1ELi2ELi3ELi4ELi5EEEELi5ELi4EEEDF16_DF16_NS3_INS4_IJSA_SE_SG_SG_NSB_INS4_IJiNS7_IiLi128EEEEEELb0EEENSF_ISC_EEEEENS4_IJSJ_SK_SL_SZ_SP_S10_EEENS4_IJSN_SO_SP_NSI_IJLi6EEEENSI_IJLi7ELi8EEEENSI_IJLi9EEEEEEENSI_IJLi6ELi7ELi8ELi9EEEElEENS3_INS4_IJSU_SE_SG_SG_S1D_S1E_EEENS4_IJSJ_SL_SK_SZ_SP_S10_EEES1K_S1L_lEENS3_INS4_IJSU_SG_SG_NSB_INS4_IJiSC_NS7_IiLi64EEEEEELb0EEES1S_EEENS4_IJSJ_SL_SK_SZ_S10_EEENS4_IJSN_SZ_S10_NSI_IJLi5ELi6ELi7EEEENSI_IJLi8ELi9ELi10EEEEEEENSI_IJLi5ELi6ELi7ELi8ELi9ELi10EEEElEENS_31BlockToCTileMap_M00_N00_M01_N01ILi128ELi128ES12_Lb0EEELb1ELb0EEEvPKT0_S24_PT1_T2_T3_T4_T5_.kd
    .uniform_work_group_size: 1
    .uses_dynamic_stack: false
    .vgpr_count:     128
    .vgpr_spill_count: 9
    .wavefront_size: 64
  - .args:
      - .actual_access:  read_only
        .address_space:  global
        .offset:         0
        .size:           8
        .value_kind:     global_buffer
      - .actual_access:  read_only
        .address_space:  global
        .offset:         8
        .size:           8
        .value_kind:     global_buffer
      - .actual_access:  write_only
        .address_space:  global
        .offset:         16
        .size:           8
        .value_kind:     global_buffer
      - .offset:         24
        .size:           64
        .value_kind:     by_value
      - .offset:         88
        .size:           64
        .value_kind:     by_value
      - .offset:         152
        .size:           64
        .value_kind:     by_value
      - .offset:         216
        .size:           112
        .value_kind:     by_value
    .group_segment_fixed_size: 32768
    .kernarg_segment_align: 8
    .kernarg_segment_size: 328
    .language:       OpenCL C
    .language_version:
      - 2
      - 0
    .max_flat_workgroup_size: 256
    .name:           _ZN2ck19kernel_gemm_dl_v1r3INS_28GridwiseGemmDl_km_kn_mn_v1r3ILi256EDF16_fDF16_LNS_25InMemoryDataOperationEnumE0ENS_16TensorDescriptorINS_5TupleIJNS_5EmbedINS4_IJiiEEENS4_IJNS_17integral_constantIiLi1EEEiEEELb0EEENS_7UnMergeINS4_IJiNS7_IiLi2EEEEEELb0EEENS_11PassThroughIiEEEEENS4_IJNS_8SequenceIJLi0EEEENSI_IJLi2EEEENSI_IJLi1EEEEEEENS4_IJNSI_IJLi1ELi2EEEENSI_IJLi3ELi4EEEENSI_IJLi5EEEEEEENSI_IJLi3ELi5ELi4EEEElEENS3_INS4_IJNS5_IS6_NS4_IJiS8_EEELb0EEESE_SG_EEENS4_IJSJ_SL_SK_EEESQ_SR_lEENS3_INS4_IJSU_SG_SG_EEESW_NS4_IJSN_NSI_IJLi3EEEENSI_IJLi4EEEEEEESO_lEELi128ELi128ELi16ELi2ELi4ELi4ELi1ENSI_IJLi8ELi2EEEES13_NSI_IJLi2ELi1ELi4ELi2EEEENSI_IJLi8ELi1ELi32ELi1EEEENSI_IJLi0ELi3ELi1ELi2EEEES16_NSI_IJLi1ELi1ELi4ELi1EEEES16_NSI_IJLi1ELi1ELi4ELi2EEEES14_S15_S16_S16_S17_S16_S18_NSI_IJLi0ELi1ELi2ELi3ELi4ELi5EEEELi5ELi4EEEDF16_DF16_NS3_INS4_IJSA_SE_SG_SG_NSB_INS4_IJiNS7_IiLi128EEEEEELb0EEENSF_ISC_EEEEENS4_IJSJ_SK_SL_SZ_SP_S10_EEENS4_IJSN_SO_SP_NSI_IJLi6EEEENSI_IJLi7ELi8EEEENSI_IJLi9EEEEEEENSI_IJLi6ELi7ELi8ELi9EEEElEENS3_INS4_IJSU_SE_SG_SG_S1D_S1E_EEENS4_IJSJ_SL_SK_SZ_SP_S10_EEES1K_S1L_lEENS3_INS4_IJSU_SG_SG_NSB_INS4_IJiSC_NS7_IiLi64EEEEEELb0EEES1S_EEENS4_IJSJ_SL_SK_SZ_S10_EEENS4_IJSN_SZ_S10_NSI_IJLi5ELi6ELi7EEEENSI_IJLi8ELi9ELi10EEEEEEENSI_IJLi5ELi6ELi7ELi8ELi9ELi10EEEElEENS_31BlockToCTileMap_M00_N00_M01_N01ILi128ELi128ES12_Lb0EEELb0ELb1EEEvPKT0_S24_PT1_T2_T3_T4_T5_
    .private_segment_fixed_size: 0
    .sgpr_count:     33
    .sgpr_spill_count: 0
    .symbol:         _ZN2ck19kernel_gemm_dl_v1r3INS_28GridwiseGemmDl_km_kn_mn_v1r3ILi256EDF16_fDF16_LNS_25InMemoryDataOperationEnumE0ENS_16TensorDescriptorINS_5TupleIJNS_5EmbedINS4_IJiiEEENS4_IJNS_17integral_constantIiLi1EEEiEEELb0EEENS_7UnMergeINS4_IJiNS7_IiLi2EEEEEELb0EEENS_11PassThroughIiEEEEENS4_IJNS_8SequenceIJLi0EEEENSI_IJLi2EEEENSI_IJLi1EEEEEEENS4_IJNSI_IJLi1ELi2EEEENSI_IJLi3ELi4EEEENSI_IJLi5EEEEEEENSI_IJLi3ELi5ELi4EEEElEENS3_INS4_IJNS5_IS6_NS4_IJiS8_EEELb0EEESE_SG_EEENS4_IJSJ_SL_SK_EEESQ_SR_lEENS3_INS4_IJSU_SG_SG_EEESW_NS4_IJSN_NSI_IJLi3EEEENSI_IJLi4EEEEEEESO_lEELi128ELi128ELi16ELi2ELi4ELi4ELi1ENSI_IJLi8ELi2EEEES13_NSI_IJLi2ELi1ELi4ELi2EEEENSI_IJLi8ELi1ELi32ELi1EEEENSI_IJLi0ELi3ELi1ELi2EEEES16_NSI_IJLi1ELi1ELi4ELi1EEEES16_NSI_IJLi1ELi1ELi4ELi2EEEES14_S15_S16_S16_S17_S16_S18_NSI_IJLi0ELi1ELi2ELi3ELi4ELi5EEEELi5ELi4EEEDF16_DF16_NS3_INS4_IJSA_SE_SG_SG_NSB_INS4_IJiNS7_IiLi128EEEEEELb0EEENSF_ISC_EEEEENS4_IJSJ_SK_SL_SZ_SP_S10_EEENS4_IJSN_SO_SP_NSI_IJLi6EEEENSI_IJLi7ELi8EEEENSI_IJLi9EEEEEEENSI_IJLi6ELi7ELi8ELi9EEEElEENS3_INS4_IJSU_SE_SG_SG_S1D_S1E_EEENS4_IJSJ_SL_SK_SZ_SP_S10_EEES1K_S1L_lEENS3_INS4_IJSU_SG_SG_NSB_INS4_IJiSC_NS7_IiLi64EEEEEELb0EEES1S_EEENS4_IJSJ_SL_SK_SZ_S10_EEENS4_IJSN_SZ_S10_NSI_IJLi5ELi6ELi7EEEENSI_IJLi8ELi9ELi10EEEEEEENSI_IJLi5ELi6ELi7ELi8ELi9ELi10EEEElEENS_31BlockToCTileMap_M00_N00_M01_N01ILi128ELi128ES12_Lb0EEELb0ELb1EEEvPKT0_S24_PT1_T2_T3_T4_T5_.kd
    .uniform_work_group_size: 1
    .uses_dynamic_stack: false
    .vgpr_count:     101
    .vgpr_spill_count: 0
    .wavefront_size: 64
  - .args:
      - .actual_access:  read_only
        .address_space:  global
        .offset:         0
        .size:           8
        .value_kind:     global_buffer
      - .actual_access:  read_only
        .address_space:  global
        .offset:         8
        .size:           8
        .value_kind:     global_buffer
      - .actual_access:  write_only
        .address_space:  global
        .offset:         16
        .size:           8
        .value_kind:     global_buffer
      - .offset:         24
        .size:           64
        .value_kind:     by_value
      - .offset:         88
        .size:           64
        .value_kind:     by_value
      - .offset:         152
        .size:           64
        .value_kind:     by_value
      - .offset:         216
        .size:           112
        .value_kind:     by_value
    .group_segment_fixed_size: 32768
    .kernarg_segment_align: 8
    .kernarg_segment_size: 328
    .language:       OpenCL C
    .language_version:
      - 2
      - 0
    .max_flat_workgroup_size: 256
    .name:           _ZN2ck19kernel_gemm_dl_v1r3INS_28GridwiseGemmDl_km_kn_mn_v1r3ILi256EDF16_fDF16_LNS_25InMemoryDataOperationEnumE0ENS_16TensorDescriptorINS_5TupleIJNS_5EmbedINS4_IJiiEEENS4_IJNS_17integral_constantIiLi1EEEiEEELb0EEENS_7UnMergeINS4_IJiNS7_IiLi2EEEEEELb0EEENS_11PassThroughIiEEEEENS4_IJNS_8SequenceIJLi0EEEENSI_IJLi2EEEENSI_IJLi1EEEEEEENS4_IJNSI_IJLi1ELi2EEEENSI_IJLi3ELi4EEEENSI_IJLi5EEEEEEENSI_IJLi3ELi5ELi4EEEElEENS3_INS4_IJNS5_IS6_NS4_IJiS8_EEELb0EEESE_SG_EEENS4_IJSJ_SL_SK_EEESQ_SR_lEENS3_INS4_IJSU_SG_SG_EEESW_NS4_IJSN_NSI_IJLi3EEEENSI_IJLi4EEEEEEESO_lEELi128ELi128ELi16ELi2ELi4ELi4ELi1ENSI_IJLi8ELi2EEEES13_NSI_IJLi2ELi1ELi4ELi2EEEENSI_IJLi8ELi1ELi32ELi1EEEENSI_IJLi0ELi3ELi1ELi2EEEES16_NSI_IJLi1ELi1ELi4ELi1EEEES16_NSI_IJLi1ELi1ELi4ELi2EEEES14_S15_S16_S16_S17_S16_S18_NSI_IJLi0ELi1ELi2ELi3ELi4ELi5EEEELi5ELi4EEEDF16_DF16_NS3_INS4_IJSA_SE_SG_SG_NSB_INS4_IJiNS7_IiLi128EEEEEELb0EEENSF_ISC_EEEEENS4_IJSJ_SK_SL_SZ_SP_S10_EEENS4_IJSN_SO_SP_NSI_IJLi6EEEENSI_IJLi7ELi8EEEENSI_IJLi9EEEEEEENSI_IJLi6ELi7ELi8ELi9EEEElEENS3_INS4_IJSU_SE_SG_SG_S1D_S1E_EEENS4_IJSJ_SL_SK_SZ_SP_S10_EEES1K_S1L_lEENS3_INS4_IJSU_SG_SG_NSB_INS4_IJiSC_NS7_IiLi64EEEEEELb0EEES1S_EEENS4_IJSJ_SL_SK_SZ_S10_EEENS4_IJSN_SZ_S10_NSI_IJLi5ELi6ELi7EEEENSI_IJLi8ELi9ELi10EEEEEEENSI_IJLi5ELi6ELi7ELi8ELi9ELi10EEEElEENS_31BlockToCTileMap_M00_N00_M01_N01ILi128ELi128ES12_Lb0EEELb0ELb0EEEvPKT0_S24_PT1_T2_T3_T4_T5_
    .private_segment_fixed_size: 0
    .sgpr_count:     33
    .sgpr_spill_count: 0
    .symbol:         _ZN2ck19kernel_gemm_dl_v1r3INS_28GridwiseGemmDl_km_kn_mn_v1r3ILi256EDF16_fDF16_LNS_25InMemoryDataOperationEnumE0ENS_16TensorDescriptorINS_5TupleIJNS_5EmbedINS4_IJiiEEENS4_IJNS_17integral_constantIiLi1EEEiEEELb0EEENS_7UnMergeINS4_IJiNS7_IiLi2EEEEEELb0EEENS_11PassThroughIiEEEEENS4_IJNS_8SequenceIJLi0EEEENSI_IJLi2EEEENSI_IJLi1EEEEEEENS4_IJNSI_IJLi1ELi2EEEENSI_IJLi3ELi4EEEENSI_IJLi5EEEEEEENSI_IJLi3ELi5ELi4EEEElEENS3_INS4_IJNS5_IS6_NS4_IJiS8_EEELb0EEESE_SG_EEENS4_IJSJ_SL_SK_EEESQ_SR_lEENS3_INS4_IJSU_SG_SG_EEESW_NS4_IJSN_NSI_IJLi3EEEENSI_IJLi4EEEEEEESO_lEELi128ELi128ELi16ELi2ELi4ELi4ELi1ENSI_IJLi8ELi2EEEES13_NSI_IJLi2ELi1ELi4ELi2EEEENSI_IJLi8ELi1ELi32ELi1EEEENSI_IJLi0ELi3ELi1ELi2EEEES16_NSI_IJLi1ELi1ELi4ELi1EEEES16_NSI_IJLi1ELi1ELi4ELi2EEEES14_S15_S16_S16_S17_S16_S18_NSI_IJLi0ELi1ELi2ELi3ELi4ELi5EEEELi5ELi4EEEDF16_DF16_NS3_INS4_IJSA_SE_SG_SG_NSB_INS4_IJiNS7_IiLi128EEEEEELb0EEENSF_ISC_EEEEENS4_IJSJ_SK_SL_SZ_SP_S10_EEENS4_IJSN_SO_SP_NSI_IJLi6EEEENSI_IJLi7ELi8EEEENSI_IJLi9EEEEEEENSI_IJLi6ELi7ELi8ELi9EEEElEENS3_INS4_IJSU_SE_SG_SG_S1D_S1E_EEENS4_IJSJ_SL_SK_SZ_SP_S10_EEES1K_S1L_lEENS3_INS4_IJSU_SG_SG_NSB_INS4_IJiSC_NS7_IiLi64EEEEEELb0EEES1S_EEENS4_IJSJ_SL_SK_SZ_S10_EEENS4_IJSN_SZ_S10_NSI_IJLi5ELi6ELi7EEEENSI_IJLi8ELi9ELi10EEEEEEENSI_IJLi5ELi6ELi7ELi8ELi9ELi10EEEElEENS_31BlockToCTileMap_M00_N00_M01_N01ILi128ELi128ES12_Lb0EEELb0ELb0EEEvPKT0_S24_PT1_T2_T3_T4_T5_.kd
    .uniform_work_group_size: 1
    .uses_dynamic_stack: false
    .vgpr_count:     84
    .vgpr_spill_count: 0
    .wavefront_size: 64
  - .args:
      - .actual_access:  read_only
        .address_space:  global
        .offset:         0
        .size:           8
        .value_kind:     global_buffer
      - .actual_access:  read_only
        .address_space:  global
        .offset:         8
        .size:           8
        .value_kind:     global_buffer
      - .actual_access:  write_only
        .address_space:  global
        .offset:         16
        .size:           8
        .value_kind:     global_buffer
      - .offset:         24
        .size:           4
        .value_kind:     by_value
      - .offset:         28
        .size:           4
        .value_kind:     by_value
      - .offset:         32
        .size:           4
        .value_kind:     by_value
      - .offset:         36
        .size:           1
        .value_kind:     by_value
      - .offset:         37
        .size:           1
        .value_kind:     by_value
      - .offset:         38
        .size:           1
        .value_kind:     by_value
      - .offset:         40
        .size:           4
        .value_kind:     hidden_block_count_x
      - .offset:         44
        .size:           4
        .value_kind:     hidden_block_count_y
      - .offset:         48
        .size:           4
        .value_kind:     hidden_block_count_z
      - .offset:         52
        .size:           2
        .value_kind:     hidden_group_size_x
      - .offset:         54
        .size:           2
        .value_kind:     hidden_group_size_y
      - .offset:         56
        .size:           2
        .value_kind:     hidden_group_size_z
      - .offset:         58
        .size:           2
        .value_kind:     hidden_remainder_x
      - .offset:         60
        .size:           2
        .value_kind:     hidden_remainder_y
      - .offset:         62
        .size:           2
        .value_kind:     hidden_remainder_z
      - .offset:         80
        .size:           8
        .value_kind:     hidden_global_offset_x
      - .offset:         88
        .size:           8
        .value_kind:     hidden_global_offset_y
      - .offset:         96
        .size:           8
        .value_kind:     hidden_global_offset_z
      - .offset:         104
        .size:           2
        .value_kind:     hidden_grid_dims
    .group_segment_fixed_size: 0
    .kernarg_segment_align: 8
    .kernarg_segment_size: 296
    .language:       OpenCL C
    .language_version:
      - 2
      - 0
    .max_flat_workgroup_size: 256
    .name:           _ZN2ck17naive_gemm_kernelINS_13tensor_layout4gemm11ColumnMajorENS2_8RowMajorES4_DF16_DF16_DF16_fNS_16tensor_operation12element_wise11PassThroughES7_S7_DF16_DF16_EEvPKT2_PKT3_PT4_iiiT6_T7_T8_
    .private_segment_fixed_size: 0
    .sgpr_count:     16
    .sgpr_spill_count: 0
    .symbol:         _ZN2ck17naive_gemm_kernelINS_13tensor_layout4gemm11ColumnMajorENS2_8RowMajorES4_DF16_DF16_DF16_fNS_16tensor_operation12element_wise11PassThroughES7_S7_DF16_DF16_EEvPKT2_PKT3_PT4_iiiT6_T7_T8_.kd
    .uniform_work_group_size: 1
    .uses_dynamic_stack: false
    .vgpr_count:     11
    .vgpr_spill_count: 0
    .wavefront_size: 64
amdhsa.target:   amdgcn-amd-amdhsa--gfx906
amdhsa.version:
  - 1
  - 2
...

	.end_amdgpu_metadata
